;; amdgpu-corpus repo=ROCm/rocFFT kind=compiled arch=gfx906 opt=O3
	.text
	.amdgcn_target "amdgcn-amd-amdhsa--gfx906"
	.amdhsa_code_object_version 6
	.protected	bluestein_single_fwd_len3840_dim1_half_op_CI_CI ; -- Begin function bluestein_single_fwd_len3840_dim1_half_op_CI_CI
	.globl	bluestein_single_fwd_len3840_dim1_half_op_CI_CI
	.p2align	8
	.type	bluestein_single_fwd_len3840_dim1_half_op_CI_CI,@function
bluestein_single_fwd_len3840_dim1_half_op_CI_CI: ; @bluestein_single_fwd_len3840_dim1_half_op_CI_CI
; %bb.0:
	s_load_dwordx4 s[16:19], s[4:5], 0x28
	s_mov_b64 s[26:27], s[2:3]
	s_mov_b64 s[24:25], s[0:1]
	s_add_u32 s24, s24, s7
	s_mov_b32 s7, 0
	s_waitcnt lgkmcnt(0)
	v_mov_b32_e32 v1, s16
	v_mov_b32_e32 v2, s17
	v_cmp_lt_u64_e32 vcc, s[6:7], v[1:2]
	s_addc_u32 s25, s25, 0
	v_mov_b32_e32 v58, v0
	s_and_saveexec_b64 s[0:1], vcc
	s_cbranch_execz .LBB0_2
; %bb.1:
	s_load_dwordx4 s[8:11], s[4:5], 0x18
	s_load_dwordx4 s[0:3], s[4:5], 0x0
	v_mov_b32_e32 v0, s6
	v_mov_b32_e32 v1, s7
	;; [unrolled: 1-line block ×3, first 2 shown]
	s_waitcnt lgkmcnt(0)
	s_load_dwordx4 s[12:15], s[8:9], 0x0
	v_lshlrev_b32_e32 v48, 2, v58
	v_or_b32_e32 v134, 0x480, v58
	v_lshlrev_b32_e32 v44, 2, v134
	v_or_b32_e32 v137, 0x600, v58
	s_waitcnt lgkmcnt(0)
	v_mad_u64_u32 v[1:2], s[6:7], s14, v0, 0
	v_mad_u64_u32 v[3:4], s[6:7], s12, v58, 0
	buffer_store_dword v0, off, s[24:27], 0 offset:60 ; 4-byte Folded Spill
	s_nop 0
	buffer_store_dword v1, off, s[24:27], 0 offset:64 ; 4-byte Folded Spill
	s_mul_i32 s8, s13, 0x600
	s_mul_hi_u32 s14, s12, 0x600
	global_load_dword v73, v48, s[0:1]
	global_load_dword v72, v48, s[0:1] offset:1536
	v_lshlrev_b32_e32 v39, 2, v137
	v_or_b32_e32 v38, 0x1e00, v48
	v_or_b32_e32 v77, 0x2400, v48
	;; [unrolled: 1-line block ×4, first 2 shown]
	v_lshlrev_b32_e32 v78, 2, v185
	v_or_b32_e32 v82, 0x3000, v48
	v_or_b32_e32 v41, 0x3600, v48
	;; [unrolled: 1-line block ×3, first 2 shown]
	v_lshlrev_b32_e32 v75, 2, v174
	v_or_b32_e32 v173, 0x680, v58
	v_lshlrev_b32_e32 v87, 2, v173
	v_or_b32_e32 v40, 0x2000, v48
	v_or_b32_e32 v74, 0x2c00, v48
	;; [unrolled: 1-line block ×9, first 2 shown]
	v_lshlrev_b32_e32 v86, 2, v175
	v_or_b32_e32 v176, 0x580, v58
	v_lshlrev_b32_e32 v88, 2, v176
	v_or_b32_e32 v83, 0x3400, v48
	v_or_b32_e32 v84, 0x3a00, v48
	s_movk_i32 s19, 0xff88
	s_load_dwordx2 s[4:5], s[4:5], 0x38
	v_mad_u64_u32 v[5:6], s[6:7], s15, v0, v[2:3]
	s_mul_i32 s15, s12, 0x600
	v_mov_b32_e32 v0, 0xffffcc00
	v_mad_u64_u32 v[6:7], s[6:7], s13, v58, v[4:5]
	v_mov_b32_e32 v2, v5
	v_lshlrev_b64 v[1:2], 2, v[1:2]
	v_mov_b32_e32 v4, v6
	v_add_co_u32_e32 v5, vcc, s18, v1
	v_addc_co_u32_e32 v6, vcc, v8, v2, vcc
	v_lshlrev_b64 v[1:2], 2, v[3:4]
	s_add_u32 s6, s0, 0x3c00
	v_add_co_u32_e32 v1, vcc, v5, v1
	s_addc_u32 s7, s1, 0
	v_addc_co_u32_e32 v2, vcc, v6, v2, vcc
	s_add_i32 s14, s14, s8
	global_load_dword v5, v[1:2], off
	v_mov_b32_e32 v3, s14
	v_add_co_u32_e32 v1, vcc, s15, v1
	v_addc_co_u32_e32 v2, vcc, v2, v3, vcc
	v_mov_b32_e32 v4, s14
	v_add_co_u32_e32 v3, vcc, s15, v1
	v_addc_co_u32_e32 v4, vcc, v2, v4, vcc
	global_load_dword v6, v[1:2], off
	global_load_dword v7, v[3:4], off
	global_load_dword v71, v48, s[0:1] offset:3072
	v_mov_b32_e32 v2, s14
	v_add_co_u32_e32 v1, vcc, s15, v3
	v_addc_co_u32_e32 v2, vcc, v4, v2, vcc
	global_load_dword v3, v[1:2], off
	v_mov_b32_e32 v4, s14
	v_add_co_u32_e32 v1, vcc, s15, v1
	global_load_dword v70, v44, s[0:1]
	global_load_dword v68, v39, s[0:1]
	v_addc_co_u32_e32 v2, vcc, v2, v4, vcc
	global_load_dword v4, v[1:2], off
	v_mov_b32_e32 v8, s14
	v_add_co_u32_e32 v1, vcc, s15, v1
	v_addc_co_u32_e32 v2, vcc, v2, v8, vcc
	s_load_dwordx4 s[8:11], s[10:11], 0x0
	global_load_dword v66, v38, s[0:1]
	global_load_dword v63, v48, s[0:1] offset:512
	global_load_dword v62, v48, s[0:1] offset:2048
	;; [unrolled: 1-line block ×5, first 2 shown]
	global_load_dword v8, v[1:2], off
	v_mov_b32_e32 v9, s14
	v_add_co_u32_e32 v1, vcc, s15, v1
	v_addc_co_u32_e32 v2, vcc, v2, v9, vcc
	global_load_dword v69, v77, s[0:1]
	global_load_dword v31, v78, s[0:1]
	;; [unrolled: 1-line block ×6, first 2 shown]
	s_mulk_i32 s13, 0xcc00
	global_load_dword v64, v41, s[0:1]
	v_mov_b32_e32 v16, s14
	v_mov_b32_e32 v17, s14
	;; [unrolled: 1-line block ×4, first 2 shown]
	global_load_dword v59, v87, s[0:1]
	global_load_dword v24, v89, s[0:1]
	v_mov_b32_e32 v20, s14
	global_load_dword v25, v40, s[0:1]
	global_load_dword v42, v37, s[0:1]
	v_mov_b32_e32 v22, s14
	v_mov_b32_e32 v23, s14
	global_load_dword v36, v85, s[0:1]
	global_load_dword v30, v79, s[0:1]
	;; [unrolled: 1-line block ×6, first 2 shown]
	v_mov_b32_e32 v26, s14
	v_mov_b32_e32 v27, s14
	s_movk_i32 s18, 0x78
	s_waitcnt vmcnt(31)
	v_lshrrev_b32_e32 v10, 16, v5
	v_mul_f16_sdwa v11, v73, v5 dst_sel:DWORD dst_unused:UNUSED_PAD src0_sel:WORD_1 src1_sel:DWORD
	v_mul_f16_sdwa v12, v73, v10 dst_sel:DWORD dst_unused:UNUSED_PAD src0_sel:WORD_1 src1_sel:DWORD
	v_fma_f16 v10, v73, v10, -v11
	v_fma_f16 v5, v73, v5, v12
	v_pack_b32_f16 v5, v5, v10
	s_waitcnt vmcnt(30)
	v_lshrrev_b32_e32 v11, 16, v6
	v_mul_f16_sdwa v13, v72, v6 dst_sel:DWORD dst_unused:UNUSED_PAD src0_sel:WORD_1 src1_sel:DWORD
	v_mul_f16_sdwa v12, v72, v11 dst_sel:DWORD dst_unused:UNUSED_PAD src0_sel:WORD_1 src1_sel:DWORD
	v_fma_f16 v11, v72, v11, -v13
	s_waitcnt vmcnt(29)
	v_lshrrev_b32_e32 v13, 16, v7
	s_waitcnt vmcnt(28)
	v_mul_f16_sdwa v14, v71, v7 dst_sel:DWORD dst_unused:UNUSED_PAD src0_sel:WORD_1 src1_sel:DWORD
	v_fma_f16 v6, v72, v6, v12
	v_mul_f16_sdwa v10, v71, v13 dst_sel:DWORD dst_unused:UNUSED_PAD src0_sel:WORD_1 src1_sel:DWORD
	v_fma_f16 v12, v71, v13, -v14
	s_waitcnt vmcnt(27)
	v_lshrrev_b32_e32 v13, 16, v3
	v_pack_b32_f16 v6, v6, v11
	v_fma_f16 v7, v71, v7, v10
	s_waitcnt vmcnt(26)
	v_mul_f16_sdwa v14, v70, v3 dst_sel:DWORD dst_unused:UNUSED_PAD src0_sel:WORD_1 src1_sel:DWORD
	v_mul_f16_sdwa v10, v70, v13 dst_sel:DWORD dst_unused:UNUSED_PAD src0_sel:WORD_1 src1_sel:DWORD
	v_fma_f16 v11, v70, v13, -v14
	v_fma_f16 v3, v70, v3, v10
	s_waitcnt vmcnt(24)
	v_lshrrev_b32_e32 v13, 16, v4
	v_mul_f16_sdwa v10, v68, v13 dst_sel:DWORD dst_unused:UNUSED_PAD src0_sel:WORD_1 src1_sel:DWORD
	v_mul_f16_sdwa v14, v68, v4 dst_sel:DWORD dst_unused:UNUSED_PAD src0_sel:WORD_1 src1_sel:DWORD
	v_pack_b32_f16 v11, v3, v11
	v_fma_f16 v3, v68, v4, v10
	global_load_dword v4, v[1:2], off
	v_add_co_u32_e32 v1, vcc, s15, v1
	v_addc_co_u32_e32 v2, vcc, v2, v9, vcc
	global_load_dword v9, v[1:2], off
	v_mov_b32_e32 v10, s14
	v_add_co_u32_e32 v1, vcc, s15, v1
	v_addc_co_u32_e32 v2, vcc, v2, v10, vcc
	v_pack_b32_f16 v7, v7, v12
	global_load_dword v10, v[1:2], off
	v_mov_b32_e32 v12, s14
	v_add_co_u32_e32 v1, vcc, s15, v1
	v_addc_co_u32_e32 v2, vcc, v2, v12, vcc
	global_load_dword v12, v[1:2], off
	v_mad_u64_u32 v[1:2], s[16:17], s12, v0, v[1:2]
	s_sub_i32 s16, s13, s12
	v_fma_f16 v13, v68, v13, -v14
	v_add_u32_e32 v2, s16, v2
	global_load_dword v15, v[1:2], off
	v_add_co_u32_e32 v1, vcc, s15, v1
	v_addc_co_u32_e32 v2, vcc, v2, v16, vcc
	global_load_dword v16, v[1:2], off
	v_add_co_u32_e32 v1, vcc, s15, v1
	v_addc_co_u32_e32 v2, vcc, v2, v17, vcc
	;; [unrolled: 3-line block ×7, first 2 shown]
	global_load_dword v23, v[1:2], off
	v_pack_b32_f16 v3, v3, v13
	s_waitcnt vmcnt(29)
	v_lshrrev_b32_e32 v13, 16, v8
	v_mul_f16_sdwa v14, v66, v13 dst_sel:DWORD dst_unused:UNUSED_PAD src0_sel:WORD_1 src1_sel:DWORD
	v_fma_f16 v14, v66, v8, v14
	v_mul_f16_sdwa v8, v66, v8 dst_sel:DWORD dst_unused:UNUSED_PAD src0_sel:WORD_1 src1_sel:DWORD
	v_fma_f16 v8, v66, v13, -v8
	v_pack_b32_f16 v8, v14, v8
	v_add_co_u32_e32 v1, vcc, s15, v1
	v_mov_b32_e32 v0, 0xffffcc00
	s_waitcnt vmcnt(20)
	buffer_store_dword v24, off, s[24:27], 0 offset:48 ; 4-byte Folded Spill
	s_waitcnt vmcnt(20)
	buffer_store_dword v25, off, s[24:27], 0 offset:56 ; 4-byte Folded Spill
	v_mov_b32_e32 v43, v21
	buffer_store_dword v43, off, s[24:27], 0 offset:52 ; 4-byte Folded Spill
	s_waitcnt vmcnt(21)
	buffer_store_dword v42, off, s[24:27], 0 offset:44 ; 4-byte Folded Spill
	s_waitcnt vmcnt(21)
	buffer_store_dword v36, off, s[24:27], 0 offset:40 ; 4-byte Folded Spill
	buffer_store_dword v35, off, s[24:27], 0 offset:36 ; 4-byte Folded Spill
	;; [unrolled: 1-line block ×3, first 2 shown]
	s_waitcnt vmcnt(19)
	buffer_store_dword v33, off, s[24:27], 0 offset:24 ; 4-byte Folded Spill
	buffer_store_dword v31, off, s[24:27], 0 offset:20 ; 4-byte Folded Spill
	s_waitcnt vmcnt(20)
	v_lshrrev_b32_e32 v13, 16, v4
	v_mul_f16_sdwa v14, v69, v13 dst_sel:DWORD dst_unused:UNUSED_PAD src0_sel:WORD_1 src1_sel:DWORD
	v_fma_f16 v14, v69, v4, v14
	v_mul_f16_sdwa v4, v69, v4 dst_sel:DWORD dst_unused:UNUSED_PAD src0_sel:WORD_1 src1_sel:DWORD
	v_fma_f16 v4, v69, v13, -v4
	s_waitcnt vmcnt(19)
	v_lshrrev_b32_e32 v13, 16, v9
	v_pack_b32_f16 v4, v14, v4
	v_mul_f16_sdwa v14, v67, v13 dst_sel:DWORD dst_unused:UNUSED_PAD src0_sel:WORD_1 src1_sel:DWORD
	v_fma_f16 v14, v67, v9, v14
	v_mul_f16_sdwa v9, v67, v9 dst_sel:DWORD dst_unused:UNUSED_PAD src0_sel:WORD_1 src1_sel:DWORD
	v_fma_f16 v9, v67, v13, -v9
	v_pack_b32_f16 v9, v14, v9
	s_waitcnt vmcnt(18)
	v_lshrrev_b32_e32 v13, 16, v10
	v_mul_f16_sdwa v14, v65, v13 dst_sel:DWORD dst_unused:UNUSED_PAD src0_sel:WORD_1 src1_sel:DWORD
	v_fma_f16 v14, v65, v10, v14
	v_mul_f16_sdwa v10, v65, v10 dst_sel:DWORD dst_unused:UNUSED_PAD src0_sel:WORD_1 src1_sel:DWORD
	v_fma_f16 v10, v65, v13, -v10
	v_pack_b32_f16 v10, v14, v10
	s_waitcnt vmcnt(17)
	v_lshrrev_b32_e32 v13, 16, v12
	;; [unrolled: 7-line block ×3, first 2 shown]
	v_mul_f16_sdwa v14, v63, v13 dst_sel:DWORD dst_unused:UNUSED_PAD src0_sel:WORD_1 src1_sel:DWORD
	v_fma_f16 v14, v63, v15, v14
	v_mul_f16_sdwa v15, v63, v15 dst_sel:DWORD dst_unused:UNUSED_PAD src0_sel:WORD_1 src1_sel:DWORD
	v_fma_f16 v13, v63, v13, -v15
	v_pack_b32_f16 v13, v14, v13
	ds_write2st64_b32 v48, v5, v13 offset1:2
	s_waitcnt vmcnt(15)
	v_lshrrev_b32_e32 v5, 16, v16
	v_mul_f16_sdwa v13, v62, v5 dst_sel:DWORD dst_unused:UNUSED_PAD src0_sel:WORD_1 src1_sel:DWORD
	v_mul_f16_sdwa v14, v62, v16 dst_sel:DWORD dst_unused:UNUSED_PAD src0_sel:WORD_1 src1_sel:DWORD
	v_fma_f16 v13, v62, v16, v13
	v_fma_f16 v5, v62, v5, -v14
	v_pack_b32_f16 v5, v13, v5
	s_waitcnt vmcnt(14)
	v_lshrrev_b32_e32 v13, 16, v17
	v_mul_f16_sdwa v14, v60, v13 dst_sel:DWORD dst_unused:UNUSED_PAD src0_sel:WORD_1 src1_sel:DWORD
	v_mul_f16_sdwa v15, v60, v17 dst_sel:DWORD dst_unused:UNUSED_PAD src0_sel:WORD_1 src1_sel:DWORD
	v_fma_f16 v14, v60, v17, v14
	v_fma_f16 v13, v60, v13, -v15
	v_pack_b32_f16 v13, v14, v13
	ds_write2st64_b32 v48, v7, v13 offset0:12 offset1:14
	s_waitcnt vmcnt(13)
	v_lshrrev_b32_e32 v7, 16, v18
	v_mul_f16_sdwa v13, v61, v7 dst_sel:DWORD dst_unused:UNUSED_PAD src0_sel:WORD_1 src1_sel:DWORD
	v_mul_f16_sdwa v14, v61, v18 dst_sel:DWORD dst_unused:UNUSED_PAD src0_sel:WORD_1 src1_sel:DWORD
	v_fma_f16 v13, v61, v18, v13
	v_fma_f16 v7, v61, v7, -v14
	v_pack_b32_f16 v7, v13, v7
	s_waitcnt vmcnt(12)
	v_lshrrev_b32_e32 v13, 16, v19
	v_mul_f16_sdwa v14, v59, v13 dst_sel:DWORD dst_unused:UNUSED_PAD src0_sel:WORD_1 src1_sel:DWORD
	v_mul_f16_sdwa v15, v59, v19 dst_sel:DWORD dst_unused:UNUSED_PAD src0_sel:WORD_1 src1_sel:DWORD
	v_fma_f16 v14, v59, v19, v14
	v_fma_f16 v13, v59, v13, -v15
	v_pack_b32_f16 v13, v14, v13
	ds_write2st64_b32 v48, v3, v13 offset0:24 offset1:26
	s_waitcnt vmcnt(11)
	v_lshrrev_b32_e32 v3, 16, v20
	v_mul_f16_sdwa v13, v25, v3 dst_sel:DWORD dst_unused:UNUSED_PAD src0_sel:WORD_1 src1_sel:DWORD
	v_mul_f16_sdwa v14, v25, v20 dst_sel:DWORD dst_unused:UNUSED_PAD src0_sel:WORD_1 src1_sel:DWORD
	v_fma_f16 v13, v25, v20, v13
	v_fma_f16 v3, v25, v3, -v14
	v_pack_b32_f16 v13, v13, v3
	s_waitcnt vmcnt(10)
	v_lshrrev_b32_e32 v3, 16, v22
	v_mul_f16_sdwa v14, v24, v3 dst_sel:DWORD dst_unused:UNUSED_PAD src0_sel:WORD_1 src1_sel:DWORD
	v_mul_f16_sdwa v15, v24, v22 dst_sel:DWORD dst_unused:UNUSED_PAD src0_sel:WORD_1 src1_sel:DWORD
	v_fma_f16 v14, v24, v22, v14
	v_fma_f16 v3, v24, v3, -v15
	v_pack_b32_f16 v3, v14, v3
	s_waitcnt vmcnt(9)
	v_lshrrev_b32_e32 v14, 16, v23
	ds_write2st64_b32 v48, v4, v3 offset0:36 offset1:38
	v_mul_f16_sdwa v3, v21, v14 dst_sel:DWORD dst_unused:UNUSED_PAD src0_sel:WORD_1 src1_sel:DWORD
	v_fma_f16 v15, v21, v23, v3
	v_mov_b32_e32 v3, s14
	v_addc_co_u32_e32 v2, vcc, v2, v3, vcc
	global_load_dword v17, v[1:2], off
	v_add_co_u32_e32 v1, vcc, s15, v1
	v_addc_co_u32_e32 v2, vcc, v2, v3, vcc
	v_mad_u64_u32 v[3:4], s[12:13], s12, v0, v[1:2]
	global_load_dword v18, v[1:2], off
	v_mov_b32_e32 v2, s14
	v_add_u32_e32 v4, s16, v4
	global_load_dword v19, v[3:4], off
	v_add_co_u32_e32 v1, vcc, s15, v3
	v_addc_co_u32_e32 v2, vcc, v4, v2, vcc
	global_load_dword v3, v[1:2], off
	v_mov_b32_e32 v4, s14
	v_add_co_u32_e32 v1, vcc, s15, v1
	v_addc_co_u32_e32 v2, vcc, v2, v4, vcc
	global_load_dword v4, v[1:2], off
	v_mov_b32_e32 v20, s14
	v_add_co_u32_e32 v1, vcc, s15, v1
	v_addc_co_u32_e32 v2, vcc, v2, v20, vcc
	global_load_dword v20, v[1:2], off
	v_mov_b32_e32 v22, s14
	v_add_co_u32_e32 v1, vcc, s15, v1
	v_addc_co_u32_e32 v2, vcc, v2, v22, vcc
	global_load_dword v22, v[1:2], off
	v_mul_f16_sdwa v16, v21, v23 dst_sel:DWORD dst_unused:UNUSED_PAD src0_sel:WORD_1 src1_sel:DWORD
	v_mov_b32_e32 v23, s14
	v_add_co_u32_e32 v1, vcc, s15, v1
	v_addc_co_u32_e32 v2, vcc, v2, v23, vcc
	global_load_dword v23, v[1:2], off
	v_mov_b32_e32 v24, s14
	v_add_co_u32_e32 v1, vcc, s15, v1
	v_addc_co_u32_e32 v2, vcc, v2, v24, vcc
	global_load_dword v24, v[1:2], off
	;; [unrolled: 4-line block ×3, first 2 shown]
	v_add_co_u32_e32 v1, vcc, s15, v1
	v_addc_co_u32_e32 v2, vcc, v2, v26, vcc
	global_load_dword v26, v[1:2], off
	global_load_dword v21, v83, s[0:1]
	global_load_dword v0, v84, s[0:1]
	v_add_co_u32_e32 v1, vcc, s15, v1
	v_addc_co_u32_e32 v2, vcc, v2, v27, vcc
	global_load_dword v1, v[1:2], off
	v_fma_f16 v2, v43, v14, -v16
	v_pack_b32_f16 v2, v15, v2
	buffer_store_dword v34, off, s[24:27], 0 offset:28 ; 4-byte Folded Spill
	buffer_store_dword v30, off, s[24:27], 0 offset:16 ; 4-byte Folded Spill
	;; [unrolled: 1-line block ×4, first 2 shown]
	s_movk_i32 s12, 0x3b9c
	s_mov_b32 s13, 0xbb9c
	s_movk_i32 s0, 0x38b4
	s_mov_b32 s14, 0xb8b4
	s_movk_i32 s1, 0x34f2
	s_movk_i32 s15, 0x3a79
	s_waitcnt vmcnt(17)
	v_lshrrev_b32_e32 v14, 16, v17
	v_mul_f16_sdwa v15, v42, v14 dst_sel:DWORD dst_unused:UNUSED_PAD src0_sel:WORD_1 src1_sel:DWORD
	v_mul_f16_sdwa v16, v42, v17 dst_sel:DWORD dst_unused:UNUSED_PAD src0_sel:WORD_1 src1_sel:DWORD
	v_fma_f16 v15, v42, v17, v15
	v_fma_f16 v14, v42, v14, -v16
	v_pack_b32_f16 v14, v15, v14
	ds_write2st64_b32 v48, v10, v14 offset0:48 offset1:50
	s_waitcnt vmcnt(16)
	v_lshrrev_b32_e32 v10, 16, v18
	v_mul_f16_sdwa v14, v36, v10 dst_sel:DWORD dst_unused:UNUSED_PAD src0_sel:WORD_1 src1_sel:DWORD
	v_mul_f16_sdwa v15, v36, v18 dst_sel:DWORD dst_unused:UNUSED_PAD src0_sel:WORD_1 src1_sel:DWORD
	v_fma_f16 v14, v36, v18, v14
	v_fma_f16 v10, v36, v10, -v15
	v_pack_b32_f16 v10, v14, v10
	s_waitcnt vmcnt(15)
	v_lshrrev_b32_e32 v14, 16, v19
	v_mul_f16_sdwa v15, v35, v14 dst_sel:DWORD dst_unused:UNUSED_PAD src0_sel:WORD_1 src1_sel:DWORD
	v_mul_f16_sdwa v16, v35, v19 dst_sel:DWORD dst_unused:UNUSED_PAD src0_sel:WORD_1 src1_sel:DWORD
	v_fma_f16 v15, v35, v19, v15
	v_fma_f16 v14, v35, v14, -v16
	v_pack_b32_f16 v14, v15, v14
	ds_write2st64_b32 v48, v14, v6 offset0:4 offset1:6
	s_waitcnt vmcnt(14)
	v_lshrrev_b32_e32 v6, 16, v3
	v_mul_f16_sdwa v14, v32, v6 dst_sel:DWORD dst_unused:UNUSED_PAD src0_sel:WORD_1 src1_sel:DWORD
	v_fma_f16 v14, v32, v3, v14
	v_mul_f16_sdwa v3, v32, v3 dst_sel:DWORD dst_unused:UNUSED_PAD src0_sel:WORD_1 src1_sel:DWORD
	v_fma_f16 v3, v32, v6, -v3
	v_pack_b32_f16 v3, v14, v3
	ds_write2st64_b32 v48, v5, v3 offset0:8 offset1:10
	s_waitcnt vmcnt(13)
	v_lshrrev_b32_e32 v3, 16, v4
	v_mul_f16_sdwa v5, v34, v3 dst_sel:DWORD dst_unused:UNUSED_PAD src0_sel:WORD_1 src1_sel:DWORD
	v_fma_f16 v5, v34, v4, v5
	v_mul_f16_sdwa v4, v34, v4 dst_sel:DWORD dst_unused:UNUSED_PAD src0_sel:WORD_1 src1_sel:DWORD
	v_fma_f16 v3, v34, v3, -v4
	v_pack_b32_f16 v3, v5, v3
	ds_write2st64_b32 v48, v3, v11 offset0:16 offset1:18
	s_waitcnt vmcnt(12)
	v_lshrrev_b32_e32 v3, 16, v20
	v_mul_f16_sdwa v4, v33, v3 dst_sel:DWORD dst_unused:UNUSED_PAD src0_sel:WORD_1 src1_sel:DWORD
	v_mul_f16_sdwa v5, v33, v20 dst_sel:DWORD dst_unused:UNUSED_PAD src0_sel:WORD_1 src1_sel:DWORD
	v_fma_f16 v4, v33, v20, v4
	v_fma_f16 v3, v33, v3, -v5
	v_pack_b32_f16 v3, v4, v3
	ds_write2st64_b32 v48, v7, v3 offset0:20 offset1:22
	s_waitcnt vmcnt(11)
	v_lshrrev_b32_e32 v3, 16, v22
	v_mul_f16_sdwa v4, v31, v3 dst_sel:DWORD dst_unused:UNUSED_PAD src0_sel:WORD_1 src1_sel:DWORD
	v_mul_f16_sdwa v5, v31, v22 dst_sel:DWORD dst_unused:UNUSED_PAD src0_sel:WORD_1 src1_sel:DWORD
	v_fma_f16 v4, v31, v22, v4
	;; [unrolled: 8-line block ×5, first 2 shown]
	v_fma_f16 v3, v28, v3, -v5
	v_pack_b32_f16 v3, v4, v3
	ds_write2st64_b32 v48, v2, v3 offset0:44 offset1:46
	s_waitcnt vmcnt(7)
	v_lshrrev_b32_e32 v2, 16, v26
	s_waitcnt vmcnt(6)
	v_mul_f16_sdwa v3, v21, v2 dst_sel:DWORD dst_unused:UNUSED_PAD src0_sel:WORD_1 src1_sel:DWORD
	v_mul_f16_sdwa v4, v21, v26 dst_sel:DWORD dst_unused:UNUSED_PAD src0_sel:WORD_1 src1_sel:DWORD
	v_fma_f16 v3, v21, v26, v3
	v_fma_f16 v2, v21, v2, -v4
	v_pack_b32_f16 v2, v3, v2
	ds_write2st64_b32 v48, v2, v12 offset0:52 offset1:54
	s_waitcnt vmcnt(4)
	v_lshrrev_b32_e32 v2, 16, v1
	v_mul_f16_sdwa v3, v0, v2 dst_sel:DWORD dst_unused:UNUSED_PAD src0_sel:WORD_1 src1_sel:DWORD
	v_fma_f16 v3, v0, v1, v3
	v_mul_f16_sdwa v1, v0, v1 dst_sel:DWORD dst_unused:UNUSED_PAD src0_sel:WORD_1 src1_sel:DWORD
	v_fma_f16 v1, v0, v2, -v1
	v_pack_b32_f16 v1, v3, v1
	buffer_store_dword v21, off, s[24:27], 0 offset:4 ; 4-byte Folded Spill
	buffer_store_dword v0, off, s[24:27], 0 ; 4-byte Folded Spill
	ds_write2st64_b32 v48, v10, v1 offset0:56 offset1:58
	s_waitcnt vmcnt(0) lgkmcnt(0)
	s_barrier
	ds_read2st64_b32 v[7:8], v48 offset1:2
	ds_read2st64_b32 v[99:100], v48 offset0:4 offset1:6
	ds_read2st64_b32 v[18:19], v48 offset0:12 offset1:14
	;; [unrolled: 1-line block ×9, first 2 shown]
	s_waitcnt lgkmcnt(5)
	v_sub_f16_e32 v34, v18, v13
	s_waitcnt lgkmcnt(3)
	v_sub_f16_sdwa v32, v13, v108 dst_sel:DWORD dst_unused:UNUSED_PAD src0_sel:WORD_1 src1_sel:WORD_1
	v_lshrrev_b32_e32 v11, 16, v7
	v_add_f16_sdwa v5, v11, v18 dst_sel:DWORD dst_unused:UNUSED_PAD src0_sel:DWORD src1_sel:WORD_1
	v_add_f16_e32 v1, v7, v18
	v_add_f16_sdwa v5, v5, v13 dst_sel:DWORD dst_unused:UNUSED_PAD src0_sel:DWORD src1_sel:WORD_1
	v_add_f16_e32 v1, v1, v13
	;; [unrolled: 2-line block ×3, first 2 shown]
	s_waitcnt lgkmcnt(1)
	v_add_f16_sdwa v12, v5, v112 dst_sel:DWORD dst_unused:UNUSED_PAD src0_sel:DWORD src1_sel:WORD_1
	v_add_f16_e32 v5, v100, v102
	v_add_f16_e32 v10, v1, v112
	;; [unrolled: 1-line block ×5, first 2 shown]
	v_lshrrev_b32_e32 v6, 16, v100
	v_fma_f16 v16, v1, -0.5, v7
	v_add_f16_e32 v1, v18, v112
	v_fma_f16 v96, v5, -0.5, v100
	s_waitcnt lgkmcnt(0)
	v_add_f16_e32 v5, v102, v121
	v_fma_f16 v1, v1, -0.5, v7
	v_fma_f16 v107, v5, -0.5, v100
	v_add_f16_sdwa v5, v6, v102 dst_sel:DWORD dst_unused:UNUSED_PAD src0_sel:DWORD src1_sel:WORD_1
	v_add_f16_e32 v7, v14, v109
	v_lshrrev_b32_e32 v4, 16, v8
	v_add_f16_sdwa v36, v5, v111 dst_sel:DWORD dst_unused:UNUSED_PAD src0_sel:DWORD src1_sel:WORD_1
	v_add_f16_e32 v5, v8, v19
	v_fma_f16 v20, v7, -0.5, v8
	v_add_f16_e32 v7, v19, v113
	v_add_f16_e32 v5, v5, v14
	v_fma_f16 v23, v7, -0.5, v8
	v_add_f16_sdwa v7, v4, v19 dst_sel:DWORD dst_unused:UNUSED_PAD src0_sel:DWORD src1_sel:WORD_1
	v_add_f16_e32 v5, v5, v109
	v_add_f16_sdwa v7, v7, v14 dst_sel:DWORD dst_unused:UNUSED_PAD src0_sel:DWORD src1_sel:WORD_1
	v_add_f16_sdwa v7, v7, v109 dst_sel:DWORD dst_unused:UNUSED_PAD src0_sel:DWORD src1_sel:WORD_1
	v_add_f16_e32 v9, v5, v113
	v_add_f16_e32 v5, v110, v118
	v_lshrrev_b32_e32 v3, 16, v99
	v_add_f16_sdwa v8, v7, v113 dst_sel:DWORD dst_unused:UNUSED_PAD src0_sel:DWORD src1_sel:WORD_1
	v_fma_f16 v7, v5, -0.5, v99
	v_add_f16_e32 v5, v101, v120
	v_sub_f16_sdwa v31, v18, v112 dst_sel:DWORD dst_unused:UNUSED_PAD src0_sel:WORD_1 src1_sel:WORD_1
	v_sub_f16_e32 v2, v13, v18
	v_add_f16_sdwa v93, v13, v108 dst_sel:DWORD dst_unused:UNUSED_PAD src0_sel:WORD_1 src1_sel:WORD_1
	v_sub_f16_e32 v91, v18, v112
	v_sub_f16_e32 v92, v13, v108
	v_sub_f16_sdwa v94, v18, v13 dst_sel:DWORD dst_unused:UNUSED_PAD src0_sel:WORD_1 src1_sel:WORD_1
	v_add_f16_sdwa v104, v18, v112 dst_sel:DWORD dst_unused:UNUSED_PAD src0_sel:WORD_1 src1_sel:WORD_1
	v_sub_f16_sdwa v105, v13, v18 dst_sel:DWORD dst_unused:UNUSED_PAD src0_sel:WORD_1 src1_sel:WORD_1
	v_sub_f16_sdwa v18, v14, v109 dst_sel:DWORD dst_unused:UNUSED_PAD src0_sel:WORD_1 src1_sel:WORD_1
	v_sub_f16_e32 v29, v113, v109
	v_sub_f16_e32 v27, v109, v113
	v_add_f16_sdwa v24, v14, v109 dst_sel:DWORD dst_unused:UNUSED_PAD src0_sel:WORD_1 src1_sel:WORD_1
	v_sub_f16_e32 v13, v14, v109
	v_sub_f16_sdwa v30, v113, v109 dst_sel:DWORD dst_unused:UNUSED_PAD src0_sel:WORD_1 src1_sel:WORD_1
	v_sub_f16_sdwa v22, v109, v113 dst_sel:DWORD dst_unused:UNUSED_PAD src0_sel:WORD_1 src1_sel:WORD_1
	v_fma_f16 v5, v5, -0.5, v99
	v_add_f16_e32 v99, v99, v101
	v_add_f16_sdwa v109, v3, v101 dst_sel:DWORD dst_unused:UNUSED_PAD src0_sel:DWORD src1_sel:WORD_1
	v_add_f16_e32 v99, v99, v110
	v_add_f16_sdwa v122, v109, v110 dst_sel:DWORD dst_unused:UNUSED_PAD src0_sel:DWORD src1_sel:WORD_1
	;; [unrolled: 2-line block ×3, first 2 shown]
	v_sub_f16_e32 v35, v112, v108
	v_sub_f16_e32 v103, v108, v112
	v_sub_f16_sdwa v95, v112, v108 dst_sel:DWORD dst_unused:UNUSED_PAD src0_sel:WORD_1 src1_sel:WORD_1
	v_sub_f16_sdwa v106, v108, v112 dst_sel:DWORD dst_unused:UNUSED_PAD src0_sel:WORD_1 src1_sel:WORD_1
	;; [unrolled: 1-line block ×3, first 2 shown]
	v_sub_f16_e32 v98, v102, v111
	v_sub_f16_e32 v108, v111, v102
	v_sub_f16_sdwa v15, v19, v113 dst_sel:DWORD dst_unused:UNUSED_PAD src0_sel:WORD_1 src1_sel:WORD_1
	v_sub_f16_e32 v28, v19, v14
	v_sub_f16_e32 v25, v14, v19
	v_sub_f16_sdwa v26, v19, v14 dst_sel:DWORD dst_unused:UNUSED_PAD src0_sel:WORD_1 src1_sel:WORD_1
	v_sub_f16_sdwa v17, v14, v19 dst_sel:DWORD dst_unused:UNUSED_PAD src0_sel:WORD_1 src1_sel:WORD_1
	v_sub_f16_e32 v14, v19, v113
	v_add_f16_sdwa v19, v19, v113 dst_sel:DWORD dst_unused:UNUSED_PAD src0_sel:WORD_1 src1_sel:WORD_1
	v_add_f16_sdwa v100, v111, v119 dst_sel:DWORD dst_unused:UNUSED_PAD src0_sel:WORD_1 src1_sel:WORD_1
	v_sub_f16_e32 v127, v111, v119
	v_sub_f16_sdwa v128, v102, v111 dst_sel:DWORD dst_unused:UNUSED_PAD src0_sel:WORD_1 src1_sel:WORD_1
	v_sub_f16_sdwa v129, v111, v102 dst_sel:DWORD dst_unused:UNUSED_PAD src0_sel:WORD_1 src1_sel:WORD_1
	;; [unrolled: 1-line block ×3, first 2 shown]
	v_sub_f16_e32 v115, v101, v110
	v_sub_f16_e32 v114, v110, v101
	v_add_f16_sdwa v111, v110, v118 dst_sel:DWORD dst_unused:UNUSED_PAD src0_sel:WORD_1 src1_sel:WORD_1
	v_sub_f16_e32 v109, v110, v118
	v_sub_f16_sdwa v113, v101, v110 dst_sel:DWORD dst_unused:UNUSED_PAD src0_sel:WORD_1 src1_sel:WORD_1
	v_sub_f16_sdwa v110, v110, v101 dst_sel:DWORD dst_unused:UNUSED_PAD src0_sel:WORD_1 src1_sel:WORD_1
	;; [unrolled: 1-line block ×3, first 2 shown]
	v_sub_f16_e32 v131, v102, v121
	v_add_f16_sdwa v132, v102, v121 dst_sel:DWORD dst_unused:UNUSED_PAD src0_sel:WORD_1 src1_sel:WORD_1
	v_sub_f16_sdwa v133, v101, v120 dst_sel:DWORD dst_unused:UNUSED_PAD src0_sel:WORD_1 src1_sel:WORD_1
	v_sub_f16_e32 v116, v101, v120
	v_add_f16_sdwa v117, v101, v120 dst_sel:DWORD dst_unused:UNUSED_PAD src0_sel:WORD_1 src1_sel:WORD_1
	v_add_f16_e32 v99, v99, v118
	v_add_f16_sdwa v135, v122, v118 dst_sel:DWORD dst_unused:UNUSED_PAD src0_sel:DWORD src1_sel:WORD_1
	v_sub_f16_e32 v136, v121, v119
	v_sub_f16_e32 v138, v119, v121
	v_sub_f16_sdwa v139, v121, v119 dst_sel:DWORD dst_unused:UNUSED_PAD src0_sel:WORD_1 src1_sel:WORD_1
	v_sub_f16_sdwa v140, v119, v121 dst_sel:DWORD dst_unused:UNUSED_PAD src0_sel:WORD_1 src1_sel:WORD_1
	v_sub_f16_e32 v141, v120, v118
	v_sub_f16_e32 v142, v118, v120
	v_sub_f16_sdwa v143, v120, v118 dst_sel:DWORD dst_unused:UNUSED_PAD src0_sel:WORD_1 src1_sel:WORD_1
	v_sub_f16_sdwa v144, v118, v120 dst_sel:DWORD dst_unused:UNUSED_PAD src0_sel:WORD_1 src1_sel:WORD_1
	v_add_f16_e32 v145, v33, v121
	v_add_f16_sdwa v146, v36, v121 dst_sel:DWORD dst_unused:UNUSED_PAD src0_sel:DWORD src1_sel:WORD_1
	ds_read2st64_b32 v[101:102], v48 offset0:32 offset1:34
	ds_read2st64_b32 v[118:119], v48 offset0:44 offset1:46
	;; [unrolled: 1-line block ×5, first 2 shown]
	v_add_f16_e32 v36, v99, v120
	s_waitcnt lgkmcnt(3)
	v_add_f16_e32 v99, v101, v118
	v_add_f16_sdwa v33, v135, v120 dst_sel:DWORD dst_unused:UNUSED_PAD src0_sel:DWORD src1_sel:WORD_1
	s_waitcnt lgkmcnt(2)
	v_fma_f16 v120, v99, -0.5, v121
	s_waitcnt lgkmcnt(0)
	v_add_f16_e32 v99, v123, v125
	v_fma_f16 v135, v99, -0.5, v121
	v_add_f16_e32 v99, v102, v119
	v_fma_f16 v147, v99, -0.5, v122
	v_add_f16_e32 v99, v124, v126
	v_lshrrev_b32_e32 v149, 16, v121
	v_fma_f16 v148, v99, -0.5, v122
	v_lshrrev_b32_e32 v150, 16, v122
	v_add_f16_e32 v99, v121, v123
	v_add_f16_e32 v121, v122, v124
	v_add_f16_sdwa v122, v149, v123 dst_sel:DWORD dst_unused:UNUSED_PAD src0_sel:DWORD src1_sel:WORD_1
	v_add_f16_e32 v99, v99, v101
	v_add_f16_sdwa v122, v122, v101 dst_sel:DWORD dst_unused:UNUSED_PAD src0_sel:DWORD src1_sel:WORD_1
	;; [unrolled: 2-line block ×3, first 2 shown]
	v_add_f16_e32 v2, v2, v103
	v_fma_f16 v103, v32, s13, v1
	v_fma_f16 v1, v32, s12, v1
	v_add_f16_sdwa v151, v151, v102 dst_sel:DWORD dst_unused:UNUSED_PAD src0_sel:DWORD src1_sel:WORD_1
	v_sub_f16_sdwa v152, v101, v118 dst_sel:DWORD dst_unused:UNUSED_PAD src0_sel:WORD_1 src1_sel:WORD_1
	v_sub_f16_e32 v153, v123, v101
	v_sub_f16_e32 v154, v101, v123
	v_add_f16_sdwa v155, v101, v118 dst_sel:DWORD dst_unused:UNUSED_PAD src0_sel:WORD_1 src1_sel:WORD_1
	v_sub_f16_e32 v156, v101, v118
	v_sub_f16_sdwa v157, v123, v101 dst_sel:DWORD dst_unused:UNUSED_PAD src0_sel:WORD_1 src1_sel:WORD_1
	v_sub_f16_sdwa v158, v101, v123 dst_sel:DWORD dst_unused:UNUSED_PAD src0_sel:WORD_1 src1_sel:WORD_1
	v_add_f16_e32 v99, v99, v118
	v_add_f16_sdwa v101, v122, v118 dst_sel:DWORD dst_unused:UNUSED_PAD src0_sel:DWORD src1_sel:WORD_1
	v_add_f16_e32 v121, v121, v119
	v_fma_f16 v103, v31, s0, v103
	v_fma_f16 v1, v31, s14, v1
	v_add_f16_e32 v28, v28, v29
	v_fma_f16 v29, v15, s12, v20
	v_fma_f16 v20, v15, s13, v20
	v_sub_f16_sdwa v166, v123, v125 dst_sel:DWORD dst_unused:UNUSED_PAD src0_sel:WORD_1 src1_sel:WORD_1
	v_sub_f16_e32 v167, v123, v125
	v_add_f16_sdwa v123, v123, v125 dst_sel:DWORD dst_unused:UNUSED_PAD src0_sel:WORD_1 src1_sel:WORD_1
	v_add_f16_sdwa v122, v151, v119 dst_sel:DWORD dst_unused:UNUSED_PAD src0_sel:DWORD src1_sel:WORD_1
	v_sub_f16_e32 v151, v125, v118
	v_sub_f16_e32 v169, v118, v125
	v_sub_f16_sdwa v170, v125, v118 dst_sel:DWORD dst_unused:UNUSED_PAD src0_sel:WORD_1 src1_sel:WORD_1
	v_sub_f16_sdwa v118, v118, v125 dst_sel:DWORD dst_unused:UNUSED_PAD src0_sel:WORD_1 src1_sel:WORD_1
	v_add_f16_e32 v178, v99, v125
	v_add_f16_sdwa v125, v101, v125 dst_sel:DWORD dst_unused:UNUSED_PAD src0_sel:DWORD src1_sel:WORD_1
	v_add_f16_e32 v101, v121, v126
	v_fma_f16 v103, v2, s1, v103
	v_fma_f16 v121, v2, s1, v1
	v_fma_f16 v2, v104, -0.5, v11
	v_fma_f16 v29, v18, s0, v29
	v_fma_f16 v20, v18, s14, v20
	v_add_f16_e32 v25, v25, v27
	v_fma_f16 v27, v18, s13, v23
	v_fma_f16 v18, v18, s12, v23
	;; [unrolled: 1-line block ×6, first 2 shown]
	v_fma_f16 v24, v24, -0.5, v4
	v_add_f16_e32 v1, v105, v106
	v_fma_f16 v2, v91, s0, v2
	v_fma_f16 v18, v25, s1, v23
	;; [unrolled: 1-line block ×9, first 2 shown]
	v_fma_f16 v107, v132, -0.5, v6
	v_add_f16_e32 v15, v26, v30
	v_fma_f16 v25, v13, s14, v25
	v_fma_f16 v24, v13, s0, v24
	v_fma_f16 v4, v19, -0.5, v4
	v_fma_f16 v104, v1, s1, v104
	v_add_f16_e32 v1, v108, v138
	v_fma_f16 v2, v130, s0, v2
	v_fma_f16 v106, v130, s14, v106
	;; [unrolled: 1-line block ×5, first 2 shown]
	v_add_f16_e32 v15, v17, v22
	v_fma_f16 v17, v13, s12, v4
	v_fma_f16 v2, v1, s1, v2
	;; [unrolled: 1-line block ×3, first 2 shown]
	v_add_f16_e32 v106, v129, v140
	v_fma_f16 v108, v131, s14, v108
	v_fma_f16 v107, v127, s13, v107
	v_add_f16_e32 v34, v34, v35
	v_fma_f16 v35, v31, s12, v16
	v_fma_f16 v16, v31, s13, v16
	;; [unrolled: 1-line block ×8, first 2 shown]
	v_fma_f16 v11, v93, -0.5, v11
	v_fma_f16 v29, v28, s1, v29
	v_fma_f16 v20, v28, s1, v20
	;; [unrolled: 1-line block ×7, first 2 shown]
	v_mul_f16_e32 v107, 0x3b9c, v108
	v_fma_f16 v31, v34, s1, v31
	v_fma_f16 v32, v34, s1, v16
	;; [unrolled: 1-line block ×5, first 2 shown]
	v_add_f16_e32 v4, v153, v151
	v_fma_f16 v13, v152, s0, v13
	v_fma_f16 v14, v152, s14, v14
	;; [unrolled: 1-line block ×4, first 2 shown]
	v_fma_f16 v19, v155, -0.5, v149
	v_fma_f16 v107, v2, s1, v107
	v_mul_f16_e32 v2, 0xbb9c, v2
	v_add_f16_e32 v16, v94, v95
	v_fma_f16 v34, v92, s14, v34
	v_fma_f16 v11, v92, s0, v11
	;; [unrolled: 1-line block ×4, first 2 shown]
	v_add_f16_e32 v14, v154, v169
	v_fma_f16 v15, v166, s0, v15
	v_fma_f16 v17, v166, s14, v17
	;; [unrolled: 1-line block ×5, first 2 shown]
	v_mul_f16_e32 v2, 0xb4f2, v1
	v_fma_f16 v34, v16, s1, v34
	v_fma_f16 v35, v16, s1, v11
	;; [unrolled: 1-line block ×4, first 2 shown]
	v_fma_f16 v6, v100, -0.5, v6
	v_fma_f16 v15, v14, s1, v15
	v_fma_f16 v14, v14, s1, v17
	v_add_f16_e32 v17, v157, v170
	v_fma_f16 v22, v156, s14, v22
	v_fma_f16 v19, v156, s0, v19
	v_add_f16_sdwa v99, v122, v126 dst_sel:DWORD dst_unused:UNUSED_PAD src0_sel:DWORD src1_sel:WORD_1
	v_fma_f16 v122, v106, s12, v2
	v_mul_f16_e32 v2, 0xb4f2, v106
	v_add_f16_e32 v11, v98, v136
	v_fma_f16 v16, v97, s0, v16
	v_fma_f16 v91, v97, s14, v91
	;; [unrolled: 1-line block ×6, first 2 shown]
	v_fma_f16 v19, v123, -0.5, v149
	v_fma_f16 v106, v1, s13, v2
	v_fma_f16 v16, v11, s1, v16
	;; [unrolled: 1-line block ×3, first 2 shown]
	v_add_f16_e32 v91, v128, v139
	v_fma_f16 v92, v127, s14, v92
	v_fma_f16 v6, v127, s0, v6
	;; [unrolled: 1-line block ×4, first 2 shown]
	v_add_f16_e32 v1, v121, v122
	v_add_f16_e32 v2, v105, v106
	v_fma_f16 v92, v91, s1, v92
	v_fma_f16 v6, v91, s1, v6
	v_mul_f16_e32 v91, 0x3a79, v16
	v_add_f16_e32 v25, v158, v118
	v_fma_f16 v27, v167, s14, v27
	v_fma_f16 v19, v167, s0, v19
	v_sub_f16_sdwa v159, v102, v119 dst_sel:DWORD dst_unused:UNUSED_PAD src0_sel:WORD_1 src1_sel:WORD_1
	v_sub_f16_e32 v160, v124, v102
	v_sub_f16_e32 v161, v102, v124
	v_add_f16_sdwa v162, v102, v119 dst_sel:DWORD dst_unused:UNUSED_PAD src0_sel:WORD_1 src1_sel:WORD_1
	v_sub_f16_e32 v163, v102, v119
	v_sub_f16_sdwa v164, v124, v102 dst_sel:DWORD dst_unused:UNUSED_PAD src0_sel:WORD_1 src1_sel:WORD_1
	v_sub_f16_sdwa v165, v102, v124 dst_sel:DWORD dst_unused:UNUSED_PAD src0_sel:WORD_1 src1_sel:WORD_1
	;; [unrolled: 1-line block ×3, first 2 shown]
	v_sub_f16_e32 v102, v124, v126
	v_add_f16_sdwa v124, v124, v126 dst_sel:DWORD dst_unused:UNUSED_PAD src0_sel:WORD_1 src1_sel:WORD_1
	v_sub_f16_e32 v171, v126, v119
	v_sub_f16_e32 v172, v119, v126
	v_sub_f16_sdwa v177, v126, v119 dst_sel:DWORD dst_unused:UNUSED_PAD src0_sel:WORD_1 src1_sel:WORD_1
	v_sub_f16_sdwa v119, v119, v126 dst_sel:DWORD dst_unused:UNUSED_PAD src0_sel:WORD_1 src1_sel:WORD_1
	v_pack_b32_f16 v2, v1, v2
	v_add_f16_e32 v1, v103, v107
	v_add_f16_e32 v126, v104, v108
	v_fma_f16 v91, v92, s0, v91
	v_mul_f16_e32 v16, 0xb8b4, v16
	v_fma_f16 v27, v25, s1, v27
	v_fma_f16 v19, v25, s1, v19
	v_mul_f16_e32 v25, 0x3a79, v13
	v_mul_f16_e32 v13, 0xb8b4, v13
	v_pack_b32_f16 v1, v1, v126
	v_fma_f16 v92, v92, s15, v16
	v_mul_f16_e32 v16, 0xba79, v11
	v_add_f16_e32 v126, v31, v91
	v_sub_f16_e32 v93, v31, v91
	v_fma_f16 v91, v22, s15, v13
	v_mul_f16_e32 v13, 0x3b9c, v27
	v_fma_f16 v94, v6, s0, v16
	v_mul_f16_e32 v6, 0xba79, v6
	;; [unrolled: 2-line block ×3, first 2 shown]
	v_fma_f16 v98, v11, s14, v6
	v_sub_f16_e32 v95, v103, v107
	v_add_f16_e32 v103, v34, v92
	v_sub_f16_e32 v96, v34, v92
	v_fma_f16 v92, v27, s1, v15
	v_mul_f16_e32 v15, 0xb4f2, v14
	v_add_f16_e32 v100, v10, v145
	v_sub_f16_e32 v16, v10, v145
	v_add_f16_e32 v31, v32, v94
	v_sub_f16_e32 v10, v32, v94
	v_add_f16_e32 v94, v12, v146
	v_sub_f16_e32 v32, v12, v146
	v_add_f16_e32 v34, v35, v98
	v_sub_f16_e32 v12, v35, v98
	v_fma_f16 v35, v19, s12, v15
	v_mul_f16_e32 v15, 0xb4f2, v19
	v_fma_f16 v98, v14, s13, v15
	v_mul_f16_e32 v14, 0xba79, v4
	;; [unrolled: 2-line block ×3, first 2 shown]
	v_sub_f16_e32 v97, v104, v108
	v_fma_f16 v25, v22, s0, v25
	v_fma_f16 v104, v4, s14, v14
	v_add_f16_e32 v22, v29, v25
	v_sub_f16_e32 v14, v29, v25
	v_add_f16_e32 v25, v18, v13
	v_sub_f16_e32 v15, v18, v13
	;; [unrolled: 2-line block ×9, first 2 shown]
	v_fma_f16 v24, v133, s12, v7
	v_add_f16_e32 v23, v115, v141
	v_fma_f16 v24, v112, s0, v24
	v_fma_f16 v7, v133, s13, v7
	;; [unrolled: 1-line block ×6, first 2 shown]
	v_add_f16_e32 v23, v114, v142
	v_fma_f16 v24, v133, s0, v24
	v_sub_f16_e32 v11, v105, v106
	v_fma_f16 v5, v112, s12, v5
	v_fma_f16 v105, v23, s1, v24
	v_fma_f16 v24, v111, -0.5, v3
	v_fma_f16 v5, v133, s14, v5
	v_fma_f16 v104, v116, s13, v24
	;; [unrolled: 1-line block ×4, first 2 shown]
	v_add_f16_e32 v23, v113, v143
	v_fma_f16 v24, v109, s0, v24
	v_fma_f16 v3, v117, -0.5, v3
	v_fma_f16 v104, v109, s14, v104
	v_fma_f16 v107, v23, s1, v24
	v_fma_f16 v24, v109, s12, v3
	v_fma_f16 v106, v23, s1, v104
	v_add_f16_e32 v23, v110, v144
	v_fma_f16 v3, v109, s13, v3
	v_fma_f16 v24, v116, s14, v24
	v_fma_f16 v3, v116, s0, v3
	v_fma_f16 v108, v23, s1, v24
	v_fma_f16 v24, v168, s12, v147
	v_fma_f16 v3, v23, s1, v3
	v_add_f16_e32 v23, v160, v171
	v_fma_f16 v24, v159, s0, v24
	v_fma_f16 v109, v23, s1, v24
	v_fma_f16 v24, v168, s13, v147
	v_fma_f16 v24, v159, s14, v24
	v_fma_f16 v110, v23, s1, v24
	v_fma_f16 v24, v159, s13, v148
	v_add_f16_e32 v23, v161, v172
	v_fma_f16 v104, v159, s12, v148
	v_fma_f16 v24, v168, s0, v24
	v_fma_f16 v104, v168, s14, v104
	v_fma_f16 v111, v23, s1, v24
	v_fma_f16 v24, v162, -0.5, v150
	v_fma_f16 v112, v23, s1, v104
	v_fma_f16 v104, v102, s13, v24
	v_fma_f16 v24, v102, s12, v24
	v_add_f16_e32 v23, v164, v177
	v_fma_f16 v104, v163, s14, v104
	v_fma_f16 v24, v163, s0, v24
	;; [unrolled: 1-line block ×4, first 2 shown]
	v_fma_f16 v23, v124, -0.5, v150
	v_fma_f16 v116, v163, s12, v23
	v_add_f16_e32 v115, v165, v119
	v_fma_f16 v23, v163, s13, v23
	v_pack_b32_f16 v104, v126, v103
	v_pack_b32_f16 v103, v100, v94
	v_fma_f16 v94, v102, s14, v116
	v_fma_f16 v100, v102, s0, v23
	;; [unrolled: 1-line block ×3, first 2 shown]
	v_mul_f16_e32 v102, 0x3a79, v109
	v_mul_f16_e32 v109, 0xb8b4, v109
	v_fma_f16 v102, v113, s0, v102
	v_fma_f16 v109, v113, s15, v109
	v_mul_f16_e32 v113, 0x3b9c, v94
	v_fma_f16 v113, v111, s1, v113
	v_mul_f16_e32 v111, 0xbb9c, v111
	v_fma_f16 v100, v115, s1, v100
	v_fma_f16 v94, v94, s1, v111
	v_mul_f16_e32 v111, 0xb4f2, v112
	v_fma_f16 v111, v100, s12, v111
	v_mul_f16_e32 v100, 0xb4f2, v100
	v_fma_f16 v100, v112, s13, v100
	v_mul_f16_e32 v112, 0xba79, v110
	v_fma_f16 v112, v114, s0, v112
	v_add_f16_e32 v117, v3, v100
	v_sub_f16_e32 v100, v3, v100
	v_mul_u32_u24_e32 v3, 10, v58
	v_add_f16_e32 v116, v7, v112
	v_sub_f16_e32 v7, v7, v112
	v_add_f16_e32 v112, v33, v99
	v_sub_f16_e32 v33, v33, v99
	;; [unrolled: 2-line block ×4, first 2 shown]
	v_lshlrev_b32_e32 v94, 2, v3
	v_sub_f16_e32 v6, v121, v122
	s_barrier
	ds_write2_b64 v94, v[103:104], v[1:2] offset1:1
	v_pack_b32_f16 v1, v93, v96
	v_pack_b32_f16 v2, v95, v97
	;; [unrolled: 1-line block ×4, first 2 shown]
	v_or_b32_e32 v24, 0x80, v58
	ds_write2_b64 v94, v[31:32], v[1:2] offset0:2 offset1:3
	v_pack_b32_f16 v2, v10, v12
	v_pack_b32_f16 v1, v6, v11
	v_add_f16_e32 v17, v9, v178
	v_mul_f16_e32 v114, 0xba79, v114
	ds_write_b64 v94, v[1:2] offset:32
	v_mul_u32_u24_e32 v1, 10, v24
	v_sub_f16_e32 v9, v9, v178
	v_fma_f16 v110, v110, s14, v114
	v_add_f16_e32 v114, v36, v101
	v_sub_f16_e32 v36, v36, v101
	v_add_f16_e32 v101, v98, v102
	v_sub_f16_e32 v98, v98, v102
	v_add_f16_e32 v115, v105, v113
	v_sub_f16_e32 v105, v105, v113
	v_add_f16_e32 v113, v5, v111
	v_sub_f16_e32 v111, v5, v111
	v_lshlrev_b32_e32 v102, 2, v1
	v_pack_b32_f16 v2, v22, v35
	v_pack_b32_f16 v6, v27, v92
	;; [unrolled: 1-line block ×4, first 2 shown]
	ds_write2_b64 v102, v[1:2], v[5:6] offset1:1
	v_pack_b32_f16 v1, v14, v26
	v_pack_b32_f16 v2, v15, v28
	;; [unrolled: 1-line block ×4, first 2 shown]
	v_or_b32_e32 v23, 0x100, v58
	ds_write2_b64 v102, v[5:6], v[1:2] offset0:2 offset1:3
	v_pack_b32_f16 v2, v13, v20
	v_pack_b32_f16 v1, v4, v8
	ds_write_b64 v102, v[1:2] offset:32
	v_mul_u32_u24_e32 v1, 10, v23
	v_add_f16_e32 v118, v107, v110
	v_lshlrev_b32_e32 v97, 2, v1
	v_pack_b32_f16 v2, v101, v99
	v_pack_b32_f16 v4, v113, v117
	;; [unrolled: 1-line block ×4, first 2 shown]
	v_sub_f16_e32 v107, v107, v110
	ds_write2_b64 v97, v[1:2], v[3:4] offset1:1
	v_pack_b32_f16 v1, v98, v106
	v_pack_b32_f16 v2, v105, v108
	;; [unrolled: 1-line block ×4, first 2 shown]
	ds_write2_b64 v97, v[3:4], v[1:2] offset0:2 offset1:3
	v_pack_b32_f16 v2, v7, v107
	v_pack_b32_f16 v1, v111, v100
	ds_write_b64 v97, v[1:2] offset:32
	v_mul_lo_u16_e32 v1, 0x67, v58
	v_lshrrev_b16_e32 v11, 10, v1
	v_mul_lo_u16_e32 v1, 10, v11
	v_sub_u16_e32 v1, v58, v1
	v_and_b32_e32 v12, 0xff, v1
	v_mad_u64_u32 v[5:6], s[16:17], v12, 20, s[2:3]
	s_waitcnt lgkmcnt(0)
	s_barrier
	global_load_dwordx4 v[1:4], v[5:6], off
	global_load_dword v92, v[5:6], off offset:16
	ds_read2st64_b32 v[31:32], v48 offset1:2
	ds_read2st64_b32 v[25:26], v48 offset0:8 offset1:10
	ds_read2st64_b32 v[35:36], v48 offset0:20 offset1:22
	;; [unrolled: 1-line block ×5, first 2 shown]
	s_waitcnt lgkmcnt(4)
	v_lshrrev_b32_e32 v5, 16, v26
	s_waitcnt lgkmcnt(3)
	v_lshrrev_b32_e32 v6, 16, v35
	;; [unrolled: 2-line block ×5, first 2 shown]
	v_or_b32_e32 v152, 0x200, v58
	v_lshrrev_b32_e32 v13, 16, v31
	v_or_b32_e32 v22, 0x180, v58
	v_or_b32_e32 v153, 0x280, v58
	v_mul_u32_u24_e32 v154, 0x445, v152
	v_lshrrev_b32_e32 v162, 16, v154
	v_mul_u32_u24_e32 v155, 0x445, v153
	v_lshrrev_b32_e32 v164, 16, v155
	v_lshrrev_b32_e32 v196, 17, v154
	;; [unrolled: 1-line block ×4, first 2 shown]
	v_mul_lo_u16_e32 v154, 0xf0, v154
	s_waitcnt vmcnt(1)
	v_mul_f16_sdwa v10, v5, v1 dst_sel:DWORD dst_unused:UNUSED_PAD src0_sel:DWORD src1_sel:WORD_1
	v_fma_f16 v14, v26, v1, -v10
	v_mul_f16_sdwa v10, v26, v1 dst_sel:DWORD dst_unused:UNUSED_PAD src0_sel:DWORD src1_sel:WORD_1
	v_fma_f16 v15, v5, v1, v10
	v_mul_f16_sdwa v5, v6, v2 dst_sel:DWORD dst_unused:UNUSED_PAD src0_sel:DWORD src1_sel:WORD_1
	v_fma_f16 v16, v35, v2, -v5
	v_mul_f16_sdwa v5, v35, v2 dst_sel:DWORD dst_unused:UNUSED_PAD src0_sel:DWORD src1_sel:WORD_1
	v_fma_f16 v91, v6, v2, v5
	;; [unrolled: 4-line block ×4, first 2 shown]
	s_waitcnt vmcnt(0)
	v_mul_f16_sdwa v5, v9, v92 dst_sel:DWORD dst_unused:UNUSED_PAD src0_sel:DWORD src1_sel:WORD_1
	v_fma_f16 v105, v28, v92, -v5
	v_mul_f16_sdwa v5, v28, v92 dst_sel:DWORD dst_unused:UNUSED_PAD src0_sel:DWORD src1_sel:WORD_1
	v_fma_f16 v106, v9, v92, v5
	v_mul_lo_u16_e32 v5, 0xcd, v24
	v_lshrrev_b16_e32 v99, 11, v5
	v_mul_u32_u24_e32 v9, 0x199a, v152
	v_mul_lo_u16_e32 v5, 10, v99
	v_lshrrev_b32_e32 v26, 16, v9
	v_sub_u16_e32 v5, v24, v5
	v_mul_lo_u16_e32 v9, 10, v26
	v_and_b32_e32 v103, 0xff, v5
	v_sub_u16_e32 v30, v152, v9
	v_add_f16_e32 v9, v31, v16
	v_add_f16_e32 v122, v9, v98
	v_mad_u64_u32 v[9:10], s[16:17], v103, 20, s[2:3]
	v_add_f16_e32 v17, v16, v98
	v_fma_f16 v31, v17, -0.5, v31
	global_load_dword v96, v[9:10], off offset:16
	global_load_dwordx4 v[17:20], v[9:10], off
	v_mul_u32_u24_e32 v5, 0x199a, v23
	v_add_f16_e32 v9, v13, v91
	v_lshrrev_b32_e32 v100, 16, v5
	v_add_f16_e32 v125, v9, v104
	v_add_f16_e32 v9, v91, v104
	;; [unrolled: 1-line block ×3, first 2 shown]
	v_mul_lo_u16_e32 v5, 10, v100
	v_mul_u32_u24_e32 v7, 0x199a, v22
	v_fma_f16 v126, v9, -0.5, v13
	v_add_f16_e32 v9, v14, v93
	v_add_f16_e32 v132, v10, v106
	;; [unrolled: 1-line block ×3, first 2 shown]
	v_sub_u16_e32 v101, v23, v5
	v_lshrrev_b32_e32 v33, 16, v7
	s_mov_b32 s17, 0xbaee
	v_add_f16_e32 v129, v9, v105
	v_add_f16_e32 v9, v93, v105
	v_fma_f16 v133, v10, -0.5, v15
	v_sub_f16_e32 v135, v93, v105
	v_mul_lo_u16_e32 v5, 20, v101
	v_mul_lo_u16_e32 v7, 10, v33
	s_movk_i32 s16, 0x3aee
	v_fma_f16 v130, v9, -0.5, v14
	v_sub_f16_e32 v131, v95, v106
	v_fma_f16 v10, v135, s17, v133
	v_mov_b32_e32 v28, s3
	v_add_co_u32_e32 v5, vcc, s2, v5
	v_sub_u16_e32 v35, v22, v7
	v_fma_f16 v9, v131, s16, v130
	v_mul_f16_e32 v14, 0x3aee, v10
	v_addc_co_u32_e32 v6, vcc, 0, v28, vcc
	v_mul_lo_u16_e32 v7, 20, v35
	v_fma_f16 v136, v9, 0.5, v14
	v_mul_f16_e32 v9, 0xbaee, v9
	v_add_co_u32_e32 v7, vcc, s2, v7
	v_sub_f16_e32 v123, v91, v104
	v_sub_f16_e32 v127, v16, v98
	v_fma_f16 v138, v10, 0.5, v9
	v_mul_u32_u24_e32 v10, 60, v11
	v_addc_co_u32_e32 v8, vcc, 0, v28, vcc
	v_mul_lo_u16_e32 v107, 20, v30
	v_fma_f16 v124, v123, s16, v31
	v_fma_f16 v128, v127, s17, v126
	v_add_f16_e32 v13, v122, v129
	v_add_lshl_u32 v98, v10, v12, 2
	v_add_f16_e32 v10, v125, v132
	v_add_f16_e32 v9, v124, v136
	v_pack_b32_f16 v139, v13, v10
	v_add_f16_e32 v10, v128, v138
	v_add_co_u32_e32 v104, vcc, s2, v107
	v_pack_b32_f16 v140, v9, v10
	v_addc_co_u32_e32 v105, vcc, 0, v28, vcc
	global_load_dword v95, v[5:6], off offset:16
	global_load_dwordx4 v[13:16], v[5:6], off
	global_load_dword v93, v[7:8], off offset:16
                                        ; kill: killed $vgpr5 killed $vgpr6
	global_load_dwordx4 v[9:12], v[7:8], off
	global_load_dword v91, v[104:105], off offset:16
	s_nop 0
	global_load_dwordx4 v[5:8], v[104:105], off
	v_fma_f16 v31, v123, s17, v31
	v_fma_f16 v123, v127, s16, v126
	;; [unrolled: 1-line block ×4, first 2 shown]
	v_mul_f16_e32 v130, -0.5, v126
	v_fma_f16 v130, v127, s16, v130
	v_mul_f16_e32 v127, -0.5, v127
	v_fma_f16 v126, v126, s17, v127
	v_sub_f16_e32 v122, v122, v129
	v_sub_f16_e32 v125, v125, v132
	v_add_f16_e32 v127, v31, v130
	v_add_f16_e32 v129, v123, v126
	v_pack_b32_f16 v127, v127, v129
	v_pack_b32_f16 v122, v122, v125
	ds_read2st64_b32 v[104:105], v48 offset0:12 offset1:14
	ds_read2st64_b32 v[106:107], v48 offset0:32 offset1:34
	;; [unrolled: 1-line block ×9, first 2 shown]
	s_waitcnt vmcnt(0) lgkmcnt(0)
	s_barrier
	ds_write2_b32 v98, v127, v122 offset0:20 offset1:30
	v_sub_f16_e32 v122, v124, v136
	v_sub_f16_e32 v31, v31, v130
	;; [unrolled: 1-line block ×4, first 2 shown]
	v_pack_b32_f16 v122, v122, v124
	v_pack_b32_f16 v31, v31, v123
	ds_write2_b32 v98, v122, v31 offset0:40 offset1:50
	v_lshrrev_b32_e32 v31, 16, v36
	v_mul_f16_sdwa v122, v31, v18 dst_sel:DWORD dst_unused:UNUSED_PAD src0_sel:DWORD src1_sel:WORD_1
	v_fma_f16 v122, v36, v18, -v122
	v_mul_f16_sdwa v36, v36, v18 dst_sel:DWORD dst_unused:UNUSED_PAD src0_sel:DWORD src1_sel:WORD_1
	v_fma_f16 v31, v31, v18, v36
	v_lshrrev_b32_e32 v36, 16, v34
	v_mul_f16_sdwa v123, v36, v20 dst_sel:DWORD dst_unused:UNUSED_PAD src0_sel:DWORD src1_sel:WORD_1
	v_fma_f16 v123, v34, v20, -v123
	v_mul_f16_sdwa v34, v34, v20 dst_sel:DWORD dst_unused:UNUSED_PAD src0_sel:DWORD src1_sel:WORD_1
	v_fma_f16 v34, v36, v20, v34
	v_add_f16_e32 v36, v122, v123
	v_lshrrev_b32_e32 v124, 16, v32
	v_fma_f16 v36, v36, -0.5, v32
	v_add_f16_e32 v32, v32, v122
	v_add_f16_e32 v125, v124, v31
	;; [unrolled: 1-line block ×3, first 2 shown]
	v_sub_f16_e32 v126, v31, v34
	v_add_f16_e32 v31, v31, v34
	v_add_f16_e32 v32, v32, v123
	v_sub_f16_e32 v34, v122, v123
	v_lshrrev_b32_e32 v122, 16, v104
	v_mul_f16_sdwa v123, v104, v17 dst_sel:DWORD dst_unused:UNUSED_PAD src0_sel:DWORD src1_sel:WORD_1
	v_fma_f16 v31, v31, -0.5, v124
	v_fma_f16 v123, v122, v17, v123
	v_lshrrev_b32_e32 v124, 16, v106
	v_mul_f16_sdwa v122, v122, v17 dst_sel:DWORD dst_unused:UNUSED_PAD src0_sel:DWORD src1_sel:WORD_1
	v_lshrrev_b32_e32 v128, 16, v108
	v_fma_f16 v104, v104, v17, -v122
	v_mul_f16_sdwa v122, v124, v19 dst_sel:DWORD dst_unused:UNUSED_PAD src0_sel:DWORD src1_sel:WORD_1
	v_mul_f16_sdwa v127, v106, v19 dst_sel:DWORD dst_unused:UNUSED_PAD src0_sel:DWORD src1_sel:WORD_1
	v_mul_f16_sdwa v129, v108, v96 dst_sel:DWORD dst_unused:UNUSED_PAD src0_sel:DWORD src1_sel:WORD_1
	v_fma_f16 v106, v106, v19, -v122
	v_mul_f16_sdwa v122, v128, v96 dst_sel:DWORD dst_unused:UNUSED_PAD src0_sel:DWORD src1_sel:WORD_1
	v_fma_f16 v127, v124, v19, v127
	v_fma_f16 v129, v128, v96, v129
	v_fma_f16 v108, v108, v96, -v122
	v_add_f16_e32 v130, v123, v127
	v_sub_f16_e32 v131, v127, v129
	v_add_f16_e32 v127, v127, v129
	v_add_f16_e32 v122, v106, v108
	v_fma_f16 v123, v127, -0.5, v123
	v_fma_f16 v122, v122, -0.5, v104
	v_add_f16_e32 v104, v104, v106
	v_sub_f16_e32 v106, v106, v108
	v_fma_f16 v124, v106, s17, v123
	v_add_f16_e32 v104, v104, v108
	v_fma_f16 v108, v131, s16, v122
	v_mul_f16_e32 v127, 0x3aee, v124
	v_add_f16_e32 v130, v130, v129
	v_fma_f16 v127, v108, 0.5, v127
	v_mul_f16_e32 v108, 0xbaee, v108
	v_mul_u32_u24_e32 v99, 60, v99
	v_fma_f16 v108, v124, 0.5, v108
	v_add_lshl_u32 v99, v99, v103, 2
	v_add_f16_e32 v103, v32, v104
	v_add_f16_e32 v124, v125, v130
	v_pack_b32_f16 v103, v103, v124
	v_fma_f16 v124, v126, s16, v36
	v_fma_f16 v128, v34, s17, v31
	v_add_f16_e32 v129, v124, v127
	v_add_f16_e32 v132, v128, v108
	v_pack_b32_f16 v129, v129, v132
	v_fma_f16 v31, v34, s16, v31
	v_fma_f16 v34, v131, s17, v122
	ds_write2_b32 v98, v139, v140 offset1:10
	ds_write2_b32 v99, v103, v129 offset1:10
	v_fma_f16 v103, v106, s16, v123
	v_mul_f16_e32 v106, -0.5, v34
	v_fma_f16 v106, v103, s16, v106
	v_mul_f16_e32 v103, -0.5, v103
	v_fma_f16 v36, v126, s17, v36
	v_fma_f16 v34, v34, s17, v103
	v_sub_f16_e32 v32, v32, v104
	v_sub_f16_e32 v103, v125, v130
	v_add_f16_e32 v104, v36, v106
	v_add_f16_e32 v122, v31, v34
	v_pack_b32_f16 v104, v104, v122
	v_pack_b32_f16 v32, v32, v103
	ds_write2_b32 v99, v104, v32 offset0:20 offset1:30
	v_sub_f16_e32 v32, v124, v127
	v_sub_f16_e32 v36, v36, v106
	;; [unrolled: 1-line block ×4, first 2 shown]
	v_pack_b32_f16 v32, v32, v103
	v_pack_b32_f16 v31, v36, v31
	ds_write2_b32 v99, v32, v31 offset0:40 offset1:50
	v_lshrrev_b32_e32 v31, 16, v105
	v_mul_f16_sdwa v34, v105, v13 dst_sel:DWORD dst_unused:UNUSED_PAD src0_sel:DWORD src1_sel:WORD_1
	v_mul_f16_sdwa v32, v31, v13 dst_sel:DWORD dst_unused:UNUSED_PAD src0_sel:DWORD src1_sel:WORD_1
	v_fma_f16 v31, v31, v13, v34
	v_lshrrev_b32_e32 v34, 16, v107
	v_mul_f16_sdwa v103, v107, v15 dst_sel:DWORD dst_unused:UNUSED_PAD src0_sel:DWORD src1_sel:WORD_1
	v_fma_f16 v32, v105, v13, -v32
	v_mul_f16_sdwa v36, v34, v15 dst_sel:DWORD dst_unused:UNUSED_PAD src0_sel:DWORD src1_sel:WORD_1
	v_fma_f16 v34, v34, v15, v103
	v_lshrrev_b32_e32 v103, 16, v109
	v_mul_f16_sdwa v105, v109, v95 dst_sel:DWORD dst_unused:UNUSED_PAD src0_sel:DWORD src1_sel:WORD_1
	v_mul_f16_sdwa v104, v103, v95 dst_sel:DWORD dst_unused:UNUSED_PAD src0_sel:DWORD src1_sel:WORD_1
	v_fma_f16 v103, v103, v95, v105
	v_lshrrev_b32_e32 v105, 16, v112
	v_mul_f16_sdwa v106, v112, v14 dst_sel:DWORD dst_unused:UNUSED_PAD src0_sel:DWORD src1_sel:WORD_1
	v_fma_f16 v36, v107, v15, -v36
	v_fma_f16 v104, v109, v95, -v104
	v_fma_f16 v106, v105, v14, v106
	v_lshrrev_b32_e32 v107, 16, v114
	v_mul_f16_sdwa v108, v114, v16 dst_sel:DWORD dst_unused:UNUSED_PAD src0_sel:DWORD src1_sel:WORD_1
	v_lshrrev_b32_e32 v109, 16, v110
	v_mul_f16_sdwa v105, v105, v14 dst_sel:DWORD dst_unused:UNUSED_PAD src0_sel:DWORD src1_sel:WORD_1
	v_fma_f16 v108, v107, v16, v108
	v_add_f16_e32 v122, v109, v106
	v_fma_f16 v105, v112, v14, -v105
	v_mul_f16_sdwa v107, v107, v16 dst_sel:DWORD dst_unused:UNUSED_PAD src0_sel:DWORD src1_sel:WORD_1
	v_add_f16_e32 v122, v122, v108
	v_sub_f16_e32 v123, v106, v108
	v_add_f16_e32 v106, v106, v108
	v_fma_f16 v107, v114, v16, -v107
	v_add_f16_e32 v108, v110, v105
	v_fma_f16 v106, v106, -0.5, v109
	v_add_f16_e32 v108, v108, v107
	v_add_f16_e32 v109, v105, v107
	v_sub_f16_e32 v105, v105, v107
	v_add_f16_e32 v107, v31, v34
	v_sub_f16_e32 v112, v34, v103
	v_add_f16_e32 v34, v34, v103
	v_fma_f16 v31, v34, -0.5, v31
	v_add_f16_e32 v34, v36, v104
	v_fma_f16 v34, v34, -0.5, v32
	v_add_f16_e32 v32, v32, v36
	v_sub_f16_e32 v36, v36, v104
	v_add_f16_e32 v32, v32, v104
	v_fma_f16 v104, v36, s17, v31
	v_add_f16_e32 v107, v107, v103
	v_fma_f16 v103, v112, s16, v34
	v_mul_f16_e32 v114, 0x3aee, v104
	v_fma_f16 v114, v103, 0.5, v114
	v_mul_f16_e32 v103, 0xbaee, v103
	v_fma_f16 v103, v104, 0.5, v103
	v_mad_legacy_u16 v100, v100, 60, v101
	v_add_f16_e32 v101, v108, v32
	v_add_f16_e32 v104, v122, v107
	v_pack_b32_f16 v101, v101, v104
	v_fma_f16 v104, v109, -0.5, v110
	v_fma_f16 v109, v123, s16, v104
	v_fma_f16 v110, v105, s17, v106
	;; [unrolled: 1-line block ×3, first 2 shown]
	v_add_f16_e32 v124, v109, v114
	v_add_f16_e32 v125, v110, v103
	v_fma_f16 v31, v36, s16, v31
	v_mul_f16_e32 v36, -0.5, v34
	v_pack_b32_f16 v124, v124, v125
	v_lshlrev_b32_e32 v100, 2, v100
	v_fma_f16 v36, v31, s16, v36
	v_mul_f16_e32 v31, -0.5, v31
	ds_write2_b32 v100, v101, v124 offset1:10
	v_fma_f16 v101, v123, s17, v104
	v_fma_f16 v104, v105, s16, v106
	;; [unrolled: 1-line block ×3, first 2 shown]
	v_sub_f16_e32 v32, v108, v32
	v_sub_f16_e32 v34, v122, v107
	v_add_f16_e32 v105, v101, v36
	v_add_f16_e32 v106, v104, v31
	v_pack_b32_f16 v105, v105, v106
	v_pack_b32_f16 v32, v32, v34
	ds_write2_b32 v100, v105, v32 offset0:20 offset1:30
	v_sub_f16_e32 v32, v109, v114
	v_sub_f16_e32 v34, v101, v36
	;; [unrolled: 1-line block ×4, first 2 shown]
	v_pack_b32_f16 v32, v32, v36
	v_pack_b32_f16 v31, v34, v31
	ds_write2_b32 v100, v32, v31 offset0:40 offset1:50
	v_lshrrev_b32_e32 v31, 16, v113
	v_mul_f16_sdwa v34, v113, v10 dst_sel:DWORD dst_unused:UNUSED_PAD src0_sel:DWORD src1_sel:WORD_1
	v_mul_f16_sdwa v32, v31, v10 dst_sel:DWORD dst_unused:UNUSED_PAD src0_sel:DWORD src1_sel:WORD_1
	v_fma_f16 v31, v31, v10, v34
	v_lshrrev_b32_e32 v34, 16, v115
	v_mul_f16_sdwa v36, v34, v12 dst_sel:DWORD dst_unused:UNUSED_PAD src0_sel:DWORD src1_sel:WORD_1
	v_fma_f16 v32, v113, v10, -v32
	v_fma_f16 v36, v115, v12, -v36
	v_mul_f16_sdwa v101, v115, v12 dst_sel:DWORD dst_unused:UNUSED_PAD src0_sel:DWORD src1_sel:WORD_1
	v_fma_f16 v34, v34, v12, v101
	v_add_f16_e32 v101, v32, v36
	v_fma_f16 v103, v101, -0.5, v111
	v_lshrrev_b32_e32 v101, 16, v111
	v_add_f16_e32 v104, v111, v32
	v_add_f16_e32 v105, v101, v31
	v_sub_f16_e32 v106, v31, v34
	v_add_f16_e32 v31, v31, v34
	v_add_f16_e32 v105, v105, v34
	v_fma_f16 v31, v31, -0.5, v101
	v_add_f16_e32 v34, v104, v36
	v_sub_f16_e32 v32, v32, v36
	v_lshrrev_b32_e32 v36, 16, v116
	v_mul_f16_sdwa v101, v116, v9 dst_sel:DWORD dst_unused:UNUSED_PAD src0_sel:DWORD src1_sel:WORD_1
	v_lshrrev_b32_e32 v104, 16, v118
	v_mul_f16_sdwa v107, v118, v11 dst_sel:DWORD dst_unused:UNUSED_PAD src0_sel:DWORD src1_sel:WORD_1
	;; [unrolled: 2-line block ×3, first 2 shown]
	v_fma_f16 v101, v36, v9, v101
	v_fma_f16 v107, v104, v11, v107
	;; [unrolled: 1-line block ×3, first 2 shown]
	v_add_f16_e32 v110, v101, v107
	v_sub_f16_e32 v111, v107, v109
	v_add_f16_e32 v107, v107, v109
	v_fma_f16 v107, v107, -0.5, v101
	v_mul_f16_sdwa v101, v104, v11 dst_sel:DWORD dst_unused:UNUSED_PAD src0_sel:DWORD src1_sel:WORD_1
	v_mul_f16_sdwa v104, v108, v93 dst_sel:DWORD dst_unused:UNUSED_PAD src0_sel:DWORD src1_sel:WORD_1
	;; [unrolled: 1-line block ×3, first 2 shown]
	v_fma_f16 v101, v118, v11, -v101
	v_fma_f16 v104, v120, v93, -v104
	;; [unrolled: 1-line block ×3, first 2 shown]
	v_add_f16_e32 v108, v101, v104
	v_fma_f16 v108, v108, -0.5, v36
	v_add_f16_e32 v36, v36, v101
	v_add_f16_e32 v36, v36, v104
	v_sub_f16_e32 v104, v101, v104
	v_add_f16_e32 v110, v110, v109
	v_fma_f16 v109, v104, s17, v107
	v_fma_f16 v101, v111, s16, v108
	v_mul_f16_e32 v112, 0x3aee, v109
	v_fma_f16 v112, v101, 0.5, v112
	v_mul_f16_e32 v101, 0xbaee, v101
	v_fma_f16 v109, v109, 0.5, v101
	v_mad_legacy_u16 v33, v33, 60, v35
	v_add_f16_e32 v35, v34, v36
	v_add_f16_e32 v101, v105, v110
	v_fma_f16 v113, v106, s16, v103
	v_fma_f16 v114, v32, s17, v31
	v_pack_b32_f16 v35, v35, v101
	v_add_f16_e32 v101, v113, v112
	v_add_f16_e32 v115, v114, v109
	v_pack_b32_f16 v115, v101, v115
	v_lshlrev_b32_e32 v101, 2, v33
	ds_write2_b32 v101, v35, v115 offset1:10
	v_lshrrev_b32_e32 v33, 16, v117
	v_mul_f16_sdwa v115, v117, v5 dst_sel:DWORD dst_unused:UNUSED_PAD src0_sel:DWORD src1_sel:WORD_1
	v_mul_f16_sdwa v35, v33, v5 dst_sel:DWORD dst_unused:UNUSED_PAD src0_sel:DWORD src1_sel:WORD_1
	v_fma_f16 v33, v33, v5, v115
	v_lshrrev_b32_e32 v115, 16, v29
	v_mul_f16_sdwa v116, v115, v6 dst_sel:DWORD dst_unused:UNUSED_PAD src0_sel:DWORD src1_sel:WORD_1
	v_fma_f16 v116, v29, v6, -v116
	v_mul_f16_sdwa v29, v29, v6 dst_sel:DWORD dst_unused:UNUSED_PAD src0_sel:DWORD src1_sel:WORD_1
	v_fma_f16 v29, v115, v6, v29
	v_lshrrev_b32_e32 v115, 16, v119
	v_mul_f16_sdwa v118, v119, v7 dst_sel:DWORD dst_unused:UNUSED_PAD src0_sel:DWORD src1_sel:WORD_1
	v_fma_f16 v31, v32, s16, v31
	v_fma_f16 v32, v111, s17, v108
	v_fma_f16 v35, v117, v5, -v35
	v_mul_f16_sdwa v117, v115, v7 dst_sel:DWORD dst_unused:UNUSED_PAD src0_sel:DWORD src1_sel:WORD_1
	v_fma_f16 v115, v115, v7, v118
	v_lshrrev_b32_e32 v118, 16, v27
	v_fma_f16 v103, v106, s17, v103
	v_fma_f16 v104, v104, s16, v107
	v_mul_f16_e32 v106, -0.5, v32
	v_fma_f16 v117, v119, v7, -v117
	v_mul_f16_sdwa v119, v118, v8 dst_sel:DWORD dst_unused:UNUSED_PAD src0_sel:DWORD src1_sel:WORD_1
	v_fma_f16 v106, v104, s16, v106
	v_mul_f16_e32 v104, -0.5, v104
	v_fma_f16 v119, v27, v8, -v119
	v_mul_f16_sdwa v27, v27, v8 dst_sel:DWORD dst_unused:UNUSED_PAD src0_sel:DWORD src1_sel:WORD_1
	v_fma_f16 v32, v32, s17, v104
	v_fma_f16 v27, v118, v8, v27
	v_add_f16_e32 v107, v31, v32
	v_sub_f16_e32 v31, v31, v32
	v_add_f16_e32 v32, v116, v119
	v_add_f16_e32 v104, v103, v106
	v_sub_f16_e32 v103, v103, v106
	v_sub_f16_e32 v106, v114, v109
	v_fma_f16 v32, v32, -0.5, v25
	v_lshrrev_b32_e32 v108, 16, v25
	v_sub_f16_e32 v109, v29, v27
	v_lshrrev_b32_e32 v118, 16, v121
	v_sub_f16_e32 v105, v105, v110
	v_fma_f16 v110, v109, s16, v32
	v_fma_f16 v32, v109, s17, v32
	v_add_f16_e32 v109, v108, v29
	v_mul_f16_sdwa v120, v118, v91 dst_sel:DWORD dst_unused:UNUSED_PAD src0_sel:DWORD src1_sel:WORD_1
	v_add_f16_e32 v109, v109, v27
	v_add_f16_e32 v27, v29, v27
	v_fma_f16 v120, v121, v91, -v120
	v_mul_f16_sdwa v121, v121, v91 dst_sel:DWORD dst_unused:UNUSED_PAD src0_sel:DWORD src1_sel:WORD_1
	v_fma_f16 v27, v27, -0.5, v108
	v_sub_f16_e32 v29, v116, v119
	v_fma_f16 v118, v118, v91, v121
	v_fma_f16 v108, v29, s17, v27
	;; [unrolled: 1-line block ×3, first 2 shown]
	v_add_f16_e32 v29, v117, v120
	v_sub_f16_e32 v34, v34, v36
	v_sub_f16_e32 v36, v113, v112
	v_fma_f16 v29, v29, -0.5, v35
	v_sub_f16_e32 v111, v115, v118
	v_add_f16_e32 v113, v115, v118
	v_fma_f16 v112, v111, s16, v29
	v_fma_f16 v29, v111, s17, v29
	v_add_f16_e32 v111, v33, v115
	v_fma_f16 v33, v113, -0.5, v33
	v_sub_f16_e32 v113, v117, v120
	v_fma_f16 v114, v113, s17, v33
	v_fma_f16 v33, v113, s16, v33
	v_mul_f16_e32 v113, 0x3aee, v114
	v_fma_f16 v113, v112, 0.5, v113
	v_mul_f16_e32 v112, 0xbaee, v112
	v_fma_f16 v112, v114, 0.5, v112
	v_mul_f16_e32 v114, -0.5, v29
	v_add_f16_e32 v25, v25, v116
	v_add_f16_e32 v35, v35, v117
	v_fma_f16 v114, v33, s16, v114
	v_mul_f16_e32 v33, -0.5, v33
	v_add_f16_e32 v25, v25, v119
	v_add_f16_e32 v111, v111, v118
	;; [unrolled: 1-line block ×3, first 2 shown]
	v_fma_f16 v29, v29, s17, v33
	v_add_f16_e32 v33, v25, v35
	v_sub_f16_e32 v25, v25, v35
	v_add_f16_e32 v35, v110, v113
	v_sub_f16_e32 v110, v110, v113
	;; [unrolled: 2-line block ×6, first 2 shown]
	v_pack_b32_f16 v29, v104, v107
	v_pack_b32_f16 v34, v34, v105
	ds_write2_b32 v101, v29, v34 offset0:20 offset1:30
	v_pack_b32_f16 v29, v36, v106
	v_pack_b32_f16 v31, v103, v31
	v_mad_legacy_u16 v26, v26, 60, v30
	ds_write2_b32 v101, v29, v31 offset0:40 offset1:50
	v_lshlrev_b32_e32 v104, 2, v26
	v_pack_b32_f16 v26, v33, v114
	v_pack_b32_f16 v29, v35, v111
	ds_write2_b32 v104, v26, v29 offset1:10
	v_pack_b32_f16 v26, v113, v112
	v_pack_b32_f16 v25, v25, v109
	ds_write2_b32 v104, v26, v25 offset0:20 offset1:30
	v_pack_b32_f16 v25, v110, v108
	v_pack_b32_f16 v26, v32, v27
	ds_write2_b32 v104, v25, v26 offset0:40 offset1:50
	v_mul_lo_u16_e32 v25, 0x89, v58
	v_lshrrev_b16_e32 v26, 13, v25
	v_mul_lo_u16_e32 v25, 60, v26
	v_sub_u16_e32 v25, v58, v25
	v_and_b32_e32 v27, 0xff, v25
	v_lshlrev_b32_e32 v25, 2, v27
	s_waitcnt lgkmcnt(0)
	s_barrier
	global_load_dword v105, v25, s[2:3] offset:200
	v_mul_lo_u16_e32 v25, 0x89, v24
	v_lshrrev_b16_e32 v133, 13, v25
	v_mul_lo_u16_e32 v29, 60, v133
	v_sub_u16_e32 v29, v24, v29
	v_and_b32_e32 v156, 0xff, v29
	v_mul_u32_u24_e32 v29, 0x445, v23
	v_or_b32_e32 v36, 0x300, v58
	v_lshrrev_b32_e32 v158, 16, v29
	v_mul_lo_u16_e32 v29, 60, v158
	v_mul_u32_u24_e32 v157, 0x445, v36
	v_sub_u16_e32 v159, v23, v29
	v_mul_u32_u24_e32 v29, 0x445, v22
	v_lshrrev_b32_e32 v166, 16, v157
	v_mul_u32_u24_e32 v26, 0x78, v26
	v_lshrrev_b32_e32 v160, 16, v29
	v_add_lshl_u32 v103, v26, v27, 2
	v_mul_lo_u16_e32 v26, 60, v166
	v_mul_lo_u16_e32 v29, 60, v160
	v_sub_u16_e32 v167, v36, v26
	v_or_b32_e32 v26, 0x380, v58
	v_sub_u16_e32 v161, v22, v29
	v_mul_lo_u16_e32 v29, 60, v162
	v_mul_u32_u24_e32 v27, 0x445, v26
	v_sub_u16_e32 v163, v152, v29
	v_mul_lo_u16_e32 v29, 60, v164
	v_lshrrev_b32_e32 v168, 16, v27
	v_sub_u16_e32 v165, v153, v29
	v_mul_lo_u16_e32 v29, 60, v168
	v_sub_u16_e32 v169, v26, v29
	v_lshlrev_b32_e32 v29, 2, v156
	v_lshlrev_b32_e32 v30, 2, v159
	;; [unrolled: 1-line block ×7, first 2 shown]
	ds_read2st64_b32 v[135:136], v48 offset0:28 offset1:30
	global_load_dword v116, v29, s[2:3] offset:200
	global_load_dword v114, v30, s[2:3] offset:200
	global_load_dword v112, v31, s[2:3] offset:200
	global_load_dword v110, v32, s[2:3] offset:200
	global_load_dword v108, v33, s[2:3] offset:200
	global_load_dword v107, v34, s[2:3] offset:200
	global_load_dword v106, v35, s[2:3] offset:200
	ds_read2st64_b32 v[119:120], v48 offset1:2
	v_lshrrev_b16_e32 v25, 14, v25
	v_lshrrev_b32_e32 v200, 17, v157
	s_waitcnt lgkmcnt(1)
	v_lshrrev_b32_e32 v29, 16, v136
	v_lshrrev_b32_e32 v202, 17, v27
	s_waitcnt lgkmcnt(0)
	v_lshrrev_b32_e32 v31, 16, v119
	v_lshrrev_b32_e32 v223, 18, v27
	s_waitcnt vmcnt(7)
	v_mul_f16_sdwa v30, v136, v105 dst_sel:DWORD dst_unused:UNUSED_PAD src0_sel:DWORD src1_sel:WORD_1
	v_fma_f16 v30, v29, v105, v30
	v_mul_f16_sdwa v29, v29, v105 dst_sel:DWORD dst_unused:UNUSED_PAD src0_sel:DWORD src1_sel:WORD_1
	v_fma_f16 v29, v136, v105, -v29
	v_sub_f16_e32 v29, v119, v29
	v_sub_f16_e32 v30, v31, v30
	v_fma_f16 v32, v119, 2.0, -v29
	v_pack_b32_f16 v170, v29, v30
	v_mul_u32_u24_e32 v29, 0x889, v175
	v_lshrrev_b32_e32 v171, 17, v29
	v_fma_f16 v31, v31, 2.0, -v30
	v_mul_lo_u16_e32 v30, 60, v171
	v_sub_u16_e32 v172, v175, v30
	v_mul_u32_u24_e32 v30, 0x889, v134
	v_lshrrev_b32_e32 v177, 17, v30
	v_pack_b32_f16 v136, v32, v31
	v_mul_lo_u16_e32 v31, 60, v177
	v_sub_u16_e32 v178, v134, v31
	v_mul_u32_u24_e32 v31, 0x889, v174
	v_lshrrev_b32_e32 v179, 17, v31
	v_mul_lo_u16_e32 v32, 60, v179
	v_sub_u16_e32 v180, v174, v32
	v_mul_u32_u24_e32 v32, 0x889, v176
	v_lshrrev_b32_e32 v181, 17, v32
	;; [unrolled: 4-line block ×5, first 2 shown]
	v_mul_lo_u16_e32 v109, 60, v188
	v_sub_u16_e32 v189, v185, v109
	v_lshlrev_b32_e32 v109, 2, v172
	v_lshlrev_b32_e32 v111, 2, v178
	;; [unrolled: 1-line block ×7, first 2 shown]
	global_load_dword v119, v109, s[2:3] offset:200
	global_load_dword v118, v111, s[2:3] offset:200
	;; [unrolled: 1-line block ×3, first 2 shown]
	s_nop 0
	global_load_dword v115, v115, s[2:3] offset:200
	s_nop 0
	global_load_dword v113, v121, s[2:3] offset:200
	global_load_dword v111, v122, s[2:3] offset:200
	;; [unrolled: 1-line block ×3, first 2 shown]
	ds_read2st64_b32 v[121:122], v48 offset0:32 offset1:34
	ds_read2st64_b32 v[123:124], v48 offset0:4 offset1:6
	;; [unrolled: 1-line block ×13, first 2 shown]
	s_waitcnt vmcnt(0) lgkmcnt(0)
	s_barrier
	ds_write2_b32 v103, v136, v170 offset1:60
	v_lshrrev_b32_e32 v136, 16, v121
	v_mul_f16_sdwa v170, v121, v116 dst_sel:DWORD dst_unused:UNUSED_PAD src0_sel:DWORD src1_sel:WORD_1
	v_fma_f16 v170, v136, v116, v170
	v_mul_f16_sdwa v136, v136, v116 dst_sel:DWORD dst_unused:UNUSED_PAD src0_sel:DWORD src1_sel:WORD_1
	v_fma_f16 v121, v121, v116, -v136
	v_sub_f16_e32 v121, v120, v121
	v_lshrrev_b32_e32 v136, 16, v120
	v_fma_f16 v190, v120, 2.0, -v121
	v_mul_u32_u24_e32 v120, 0x78, v133
	v_sub_f16_e32 v133, v136, v170
	v_fma_f16 v136, v136, 2.0, -v133
	v_add_lshl_u32 v120, v120, v156, 2
	v_pack_b32_f16 v136, v190, v136
	v_pack_b32_f16 v121, v121, v133
	ds_write2_b32 v120, v136, v121 offset1:60
	v_lshrrev_b32_e32 v121, 16, v122
	v_mul_f16_sdwa v133, v121, v114 dst_sel:DWORD dst_unused:UNUSED_PAD src0_sel:DWORD src1_sel:WORD_1
	v_fma_f16 v133, v122, v114, -v133
	v_mul_f16_sdwa v122, v122, v114 dst_sel:DWORD dst_unused:UNUSED_PAD src0_sel:DWORD src1_sel:WORD_1
	v_fma_f16 v121, v121, v114, v122
	v_lshrrev_b32_e32 v136, 16, v123
	v_sub_f16_e32 v133, v123, v133
	v_sub_f16_e32 v121, v136, v121
	v_mad_legacy_u16 v122, v158, s18, v159
	v_fma_f16 v136, v136, 2.0, -v121
	v_fma_f16 v123, v123, 2.0, -v133
	v_pack_b32_f16 v123, v123, v136
	v_pack_b32_f16 v133, v133, v121
	v_lshlrev_b32_e32 v121, 2, v122
	ds_write2_b32 v121, v123, v133 offset1:60
	v_lshrrev_b32_e32 v122, 16, v125
	v_mul_f16_sdwa v123, v125, v112 dst_sel:DWORD dst_unused:UNUSED_PAD src0_sel:DWORD src1_sel:WORD_1
	v_fma_f16 v123, v122, v112, v123
	v_mul_f16_sdwa v122, v122, v112 dst_sel:DWORD dst_unused:UNUSED_PAD src0_sel:DWORD src1_sel:WORD_1
	v_fma_f16 v122, v125, v112, -v122
	v_lshrrev_b32_e32 v125, 16, v124
	v_sub_f16_e32 v122, v124, v122
	v_sub_f16_e32 v123, v125, v123
	v_fma_f16 v124, v124, 2.0, -v122
	v_mad_legacy_u16 v133, v160, s18, v161
	v_fma_f16 v125, v125, 2.0, -v123
	v_pack_b32_f16 v124, v124, v125
	v_pack_b32_f16 v123, v122, v123
	v_lshlrev_b32_e32 v122, 2, v133
	ds_write2_b32 v122, v124, v123 offset1:60
	v_lshrrev_b32_e32 v123, 16, v126
	v_mul_f16_sdwa v124, v123, v110 dst_sel:DWORD dst_unused:UNUSED_PAD src0_sel:DWORD src1_sel:WORD_1
	v_mul_f16_sdwa v125, v126, v110 dst_sel:DWORD dst_unused:UNUSED_PAD src0_sel:DWORD src1_sel:WORD_1
	v_fma_f16 v124, v126, v110, -v124
	v_fma_f16 v123, v123, v110, v125
	v_lshrrev_b32_e32 v126, 16, v127
	v_sub_f16_e32 v124, v127, v124
	v_sub_f16_e32 v123, v126, v123
	v_mad_legacy_u16 v125, v162, s18, v163
	v_fma_f16 v126, v126, 2.0, -v123
	v_fma_f16 v127, v127, 2.0, -v124
	v_pack_b32_f16 v126, v127, v126
	v_pack_b32_f16 v124, v124, v123
	v_lshlrev_b32_e32 v123, 2, v125
	ds_write2_b32 v123, v126, v124 offset1:60
	v_lshrrev_b32_e32 v124, 16, v129
	v_mul_f16_sdwa v125, v129, v108 dst_sel:DWORD dst_unused:UNUSED_PAD src0_sel:DWORD src1_sel:WORD_1
	v_fma_f16 v125, v124, v108, v125
	v_mul_f16_sdwa v124, v124, v108 dst_sel:DWORD dst_unused:UNUSED_PAD src0_sel:DWORD src1_sel:WORD_1
	v_fma_f16 v124, v129, v108, -v124
	v_lshrrev_b32_e32 v126, 16, v128
	v_sub_f16_e32 v124, v128, v124
	v_sub_f16_e32 v125, v126, v125
	v_fma_f16 v127, v128, 2.0, -v124
	v_mad_legacy_u16 v128, v164, s18, v165
	v_fma_f16 v126, v126, 2.0, -v125
	v_pack_b32_f16 v126, v127, v126
	v_pack_b32_f16 v125, v124, v125
	v_lshlrev_b32_e32 v124, 2, v128
	ds_write2_b32 v124, v126, v125 offset1:60
	v_lshrrev_b32_e32 v125, 16, v130
	v_mul_f16_sdwa v126, v125, v107 dst_sel:DWORD dst_unused:UNUSED_PAD src0_sel:DWORD src1_sel:WORD_1
	v_mul_f16_sdwa v127, v130, v107 dst_sel:DWORD dst_unused:UNUSED_PAD src0_sel:DWORD src1_sel:WORD_1
	v_fma_f16 v126, v130, v107, -v126
	;; [unrolled: 30-line block ×6, first 2 shown]
	v_fma_f16 v133, v133, v109, v138
	v_lshrrev_b32_e32 v138, 16, v135
	v_sub_f16_e32 v136, v135, v136
	v_sub_f16_e32 v133, v138, v133
	v_fma_f16 v135, v135, 2.0, -v136
	v_mad_legacy_u16 v139, v188, s18, v189
	v_fma_f16 v138, v138, 2.0, -v133
	v_pack_b32_f16 v135, v135, v138
	v_pack_b32_f16 v136, v136, v133
	v_lshlrev_b32_e32 v133, 2, v139
	ds_write2_b32 v133, v135, v136 offset1:60
	v_add_co_u32_e32 v135, vcc, s19, v58
	v_addc_co_u32_e64 v136, s[20:21], 0, -1, vcc
	v_cmp_gt_u32_e32 vcc, s18, v58
	v_cndmask_b32_e64 v136, v136, 0, vcc
	v_cndmask_b32_e32 v135, v135, v58, vcc
	v_lshlrev_b64 v[138:139], 2, v[135:136]
	s_waitcnt lgkmcnt(0)
	v_add_co_u32_e32 v138, vcc, s2, v138
	v_addc_co_u32_e32 v139, vcc, v28, v139, vcc
	s_barrier
	global_load_dword v151, v[138:139], off offset:440
	s_movk_i32 s18, 0x77
	v_mov_b32_e32 v136, 0xf0
	v_cmp_lt_u32_e32 vcc, s18, v58
	v_cndmask_b32_e32 v136, 0, v136, vcc
	v_add_lshl_u32 v138, v135, v136, 2
	v_mul_u32_u24_e32 v135, 0x223, v23
	v_lshrrev_b32_e32 v164, 16, v135
	v_mul_lo_u16_e32 v135, 0x78, v164
	v_sub_u16_e32 v23, v23, v135
	v_mul_lo_u16_e32 v135, 0x78, v25
	v_mul_u32_u24_e32 v165, 0x223, v22
	v_sub_u16_e32 v135, v24, v135
	v_lshrrev_b32_e32 v194, 16, v165
	v_and_b32_e32 v156, 0xff, v135
	v_mul_lo_u16_e32 v135, 0x78, v194
	v_sub_u16_e32 v195, v22, v135
	v_mul_lo_u16_e32 v135, 0x78, v196
	v_sub_u16_e32 v197, v152, v135
	;; [unrolled: 2-line block ×5, first 2 shown]
	v_lshlrev_b32_e32 v135, 2, v156
	global_load_dword v142, v135, s[2:3] offset:440
	v_lshlrev_b32_e32 v135, 2, v23
	v_lshlrev_b32_e32 v139, 2, v197
	;; [unrolled: 1-line block ×6, first 2 shown]
	ds_read2st64_b32 v[166:167], v48 offset0:28 offset1:30
	global_load_dword v148, v135, s[2:3] offset:440
	global_load_dword v146, v136, s[2:3] offset:440
	;; [unrolled: 1-line block ×4, first 2 shown]
	s_nop 0
	global_load_dword v139, v143, s[2:3] offset:440
	global_load_dword v135, v145, s[2:3] offset:440
	ds_read2st64_b32 v[158:159], v48 offset1:2
	v_lshrrev_b32_e32 v205, 18, v29
	v_lshrrev_b32_e32 v207, 18, v30
	s_waitcnt lgkmcnt(1)
	v_lshrrev_b32_e32 v136, 16, v167
	v_lshrrev_b32_e32 v209, 18, v31
	s_waitcnt lgkmcnt(0)
	v_lshrrev_b32_e32 v143, 16, v158
	v_lshrrev_b32_e32 v211, 18, v32
	;; [unrolled: 1-line block ×5, first 2 shown]
	v_mul_u32_u24_e32 v25, 0xf0, v25
	v_add_lshl_u32 v156, v25, v156, 2
	s_movk_i32 s18, 0xf0
	v_mad_legacy_u16 v23, v164, s18, v23
	s_movk_i32 s20, 0xff90
	v_sub_u16_e32 v152, v152, v154
	v_lshrrev_b32_e32 v220, 17, v165
	v_lshlrev_b32_e32 v222, 2, v152
	v_mul_lo_u16_e32 v152, 0xf0, v223
	v_sub_u16_e32 v224, v26, v152
	v_lshlrev_b32_e32 v152, 2, v224
	v_lshrrev_b32_e32 v226, 19, v30
	v_lshrrev_b32_e32 v229, 19, v32
	;; [unrolled: 1-line block ×3, first 2 shown]
	s_waitcnt vmcnt(7)
	v_mul_f16_sdwa v140, v167, v151 dst_sel:DWORD dst_unused:UNUSED_PAD src0_sel:DWORD src1_sel:WORD_1
	v_fma_f16 v140, v136, v151, v140
	v_mul_f16_sdwa v136, v136, v151 dst_sel:DWORD dst_unused:UNUSED_PAD src0_sel:DWORD src1_sel:WORD_1
	v_fma_f16 v136, v167, v151, -v136
	v_sub_f16_e32 v136, v158, v136
	v_sub_f16_e32 v140, v143, v140
	v_fma_f16 v145, v158, 2.0, -v136
	v_pack_b32_f16 v204, v136, v140
	v_mul_lo_u16_e32 v136, 0x78, v205
	v_sub_u16_e32 v206, v175, v136
	v_mul_lo_u16_e32 v136, 0x78, v207
	v_sub_u16_e32 v208, v134, v136
	v_mul_lo_u16_e32 v136, 0x78, v209
	v_sub_u16_e32 v210, v174, v136
	v_mul_lo_u16_e32 v136, 0x78, v211
	v_sub_u16_e32 v212, v176, v136
	v_mul_lo_u16_e32 v136, 0x78, v213
	v_sub_u16_e32 v214, v137, v136
	v_mul_lo_u16_e32 v136, 0x78, v215
	v_fma_f16 v143, v143, 2.0, -v140
	v_sub_u16_e32 v216, v173, v136
	v_mul_lo_u16_e32 v136, 0x78, v217
	v_pack_b32_f16 v158, v145, v143
	v_sub_u16_e32 v218, v185, v136
	v_lshlrev_b32_e32 v136, 2, v206
	v_lshlrev_b32_e32 v140, 2, v208
	;; [unrolled: 1-line block ×7, first 2 shown]
	global_load_dword v150, v136, s[2:3] offset:440
	global_load_dword v149, v140, s[2:3] offset:440
	;; [unrolled: 1-line block ×3, first 2 shown]
	s_nop 0
	global_load_dword v145, v145, s[2:3] offset:440
	s_nop 0
	global_load_dword v143, v160, s[2:3] offset:440
	global_load_dword v140, v161, s[2:3] offset:440
	;; [unrolled: 1-line block ×3, first 2 shown]
	ds_read2st64_b32 v[160:161], v48 offset0:32 offset1:34
	ds_read2st64_b32 v[162:163], v48 offset0:4 offset1:6
	;; [unrolled: 1-line block ×13, first 2 shown]
	s_waitcnt vmcnt(0) lgkmcnt(0)
	s_barrier
	ds_write2_b32 v138, v158, v204 offset1:120
	v_lshrrev_b32_e32 v158, 16, v160
	v_mul_f16_sdwa v204, v160, v142 dst_sel:DWORD dst_unused:UNUSED_PAD src0_sel:DWORD src1_sel:WORD_1
	v_fma_f16 v204, v158, v142, v204
	v_mul_f16_sdwa v158, v158, v142 dst_sel:DWORD dst_unused:UNUSED_PAD src0_sel:DWORD src1_sel:WORD_1
	v_fma_f16 v158, v160, v142, -v158
	v_lshrrev_b32_e32 v160, 16, v159
	v_sub_f16_e32 v158, v159, v158
	v_sub_f16_e32 v25, v160, v204
	v_fma_f16 v159, v159, 2.0, -v158
	v_fma_f16 v160, v160, 2.0, -v25
	v_pack_b32_f16 v159, v159, v160
	v_pack_b32_f16 v25, v158, v25
	ds_write2_b32 v156, v159, v25 offset1:120
	v_lshrrev_b32_e32 v25, 16, v161
	v_mul_f16_sdwa v158, v25, v148 dst_sel:DWORD dst_unused:UNUSED_PAD src0_sel:DWORD src1_sel:WORD_1
	v_mul_f16_sdwa v159, v161, v148 dst_sel:DWORD dst_unused:UNUSED_PAD src0_sel:DWORD src1_sel:WORD_1
	v_fma_f16 v158, v161, v148, -v158
	v_fma_f16 v25, v25, v148, v159
	v_lshrrev_b32_e32 v159, 16, v162
	v_sub_f16_e32 v158, v162, v158
	v_sub_f16_e32 v25, v159, v25
	v_fma_f16 v159, v159, 2.0, -v25
	v_fma_f16 v160, v162, 2.0, -v158
	v_pack_b32_f16 v159, v160, v159
	v_pack_b32_f16 v25, v158, v25
	v_lshlrev_b32_e32 v158, 2, v23
	ds_write2_b32 v158, v159, v25 offset1:120
	v_lshrrev_b32_e32 v23, 16, v167
	v_mul_f16_sdwa v25, v167, v146 dst_sel:DWORD dst_unused:UNUSED_PAD src0_sel:DWORD src1_sel:WORD_1
	v_fma_f16 v25, v23, v146, v25
	v_mul_f16_sdwa v23, v23, v146 dst_sel:DWORD dst_unused:UNUSED_PAD src0_sel:DWORD src1_sel:WORD_1
	v_fma_f16 v23, v167, v146, -v23
	v_lshrrev_b32_e32 v159, 16, v163
	v_sub_f16_e32 v23, v163, v23
	v_sub_f16_e32 v25, v159, v25
	v_fma_f16 v160, v163, 2.0, -v23
	v_mad_legacy_u16 v161, v194, s18, v195
	v_fma_f16 v159, v159, 2.0, -v25
	v_pack_b32_f16 v160, v160, v159
	v_pack_b32_f16 v23, v23, v25
	v_lshlrev_b32_e32 v159, 2, v161
	ds_write2_b32 v159, v160, v23 offset1:120
	v_lshrrev_b32_e32 v23, 16, v168
	v_mul_f16_sdwa v25, v23, v144 dst_sel:DWORD dst_unused:UNUSED_PAD src0_sel:DWORD src1_sel:WORD_1
	v_mul_f16_sdwa v160, v168, v144 dst_sel:DWORD dst_unused:UNUSED_PAD src0_sel:DWORD src1_sel:WORD_1
	v_fma_f16 v25, v168, v144, -v25
	v_fma_f16 v23, v23, v144, v160
	v_lshrrev_b32_e32 v161, 16, v169
	v_sub_f16_e32 v25, v169, v25
	v_sub_f16_e32 v23, v161, v23
	v_mad_legacy_u16 v160, v196, s18, v197
	v_fma_f16 v161, v161, 2.0, -v23
	v_fma_f16 v162, v169, 2.0, -v25
	v_pack_b32_f16 v161, v162, v161
	v_pack_b32_f16 v23, v25, v23
	v_lshlrev_b32_e32 v160, 2, v160
	ds_write2_b32 v160, v161, v23 offset1:120
	v_lshrrev_b32_e32 v23, 16, v171
	v_mul_f16_sdwa v25, v171, v141 dst_sel:DWORD dst_unused:UNUSED_PAD src0_sel:DWORD src1_sel:WORD_1
	v_fma_f16 v25, v23, v141, v25
	v_mul_f16_sdwa v23, v23, v141 dst_sel:DWORD dst_unused:UNUSED_PAD src0_sel:DWORD src1_sel:WORD_1
	v_fma_f16 v23, v171, v141, -v23
	v_lshrrev_b32_e32 v161, 16, v170
	v_sub_f16_e32 v23, v170, v23
	v_sub_f16_e32 v25, v161, v25
	v_fma_f16 v162, v170, 2.0, -v23
	v_mad_legacy_u16 v163, v198, s18, v199
	v_fma_f16 v161, v161, 2.0, -v25
	v_pack_b32_f16 v162, v162, v161
	v_pack_b32_f16 v23, v23, v25
	v_lshlrev_b32_e32 v161, 2, v163
	ds_write2_b32 v161, v162, v23 offset1:120
	v_lshrrev_b32_e32 v23, 16, v172
	v_mul_f16_sdwa v25, v23, v139 dst_sel:DWORD dst_unused:UNUSED_PAD src0_sel:DWORD src1_sel:WORD_1
	v_mul_f16_sdwa v162, v172, v139 dst_sel:DWORD dst_unused:UNUSED_PAD src0_sel:DWORD src1_sel:WORD_1
	v_fma_f16 v25, v172, v139, -v25
	v_fma_f16 v23, v23, v139, v162
	v_lshrrev_b32_e32 v163, 16, v177
	v_sub_f16_e32 v25, v177, v25
	v_sub_f16_e32 v23, v163, v23
	v_mad_legacy_u16 v162, v200, s18, v201
	;; [unrolled: 30-line block ×5, first 2 shown]
	v_fma_f16 v171, v171, 2.0, -v23
	v_fma_f16 v172, v190, 2.0, -v25
	v_pack_b32_f16 v171, v172, v171
	v_pack_b32_f16 v23, v25, v23
	v_lshlrev_b32_e32 v170, 2, v170
	ds_write2_b32 v170, v171, v23 offset1:120
	v_lshrrev_b32_e32 v23, 16, v192
	v_mul_f16_sdwa v25, v192, v140 dst_sel:DWORD dst_unused:UNUSED_PAD src0_sel:DWORD src1_sel:WORD_1
	v_fma_f16 v25, v23, v140, v25
	v_mul_f16_sdwa v23, v23, v140 dst_sel:DWORD dst_unused:UNUSED_PAD src0_sel:DWORD src1_sel:WORD_1
	v_fma_f16 v23, v192, v140, -v23
	v_lshrrev_b32_e32 v171, 16, v191
	v_sub_f16_e32 v23, v191, v23
	v_sub_f16_e32 v25, v171, v25
	v_fma_f16 v172, v191, 2.0, -v23
	v_mad_legacy_u16 v177, v215, s18, v216
	v_fma_f16 v171, v171, 2.0, -v25
	v_pack_b32_f16 v172, v172, v171
	v_pack_b32_f16 v23, v23, v25
	v_lshlrev_b32_e32 v171, 2, v177
	ds_write2_b32 v171, v172, v23 offset1:120
	v_lshrrev_b32_e32 v23, 16, v193
	v_mul_f16_sdwa v25, v23, v136 dst_sel:DWORD dst_unused:UNUSED_PAD src0_sel:DWORD src1_sel:WORD_1
	v_mul_f16_sdwa v172, v193, v136 dst_sel:DWORD dst_unused:UNUSED_PAD src0_sel:DWORD src1_sel:WORD_1
	v_fma_f16 v25, v193, v136, -v25
	v_fma_f16 v23, v23, v136, v172
	v_lshrrev_b32_e32 v172, 16, v166
	v_sub_f16_e32 v25, v166, v25
	v_sub_f16_e32 v23, v172, v23
	v_fma_f16 v166, v166, 2.0, -v25
	v_mad_legacy_u16 v177, v217, s18, v218
	v_fma_f16 v172, v172, 2.0, -v23
	v_pack_b32_f16 v166, v166, v172
	v_pack_b32_f16 v23, v25, v23
	v_lshlrev_b32_e32 v172, 2, v177
	ds_write2_b32 v172, v166, v23 offset1:120
	s_waitcnt lgkmcnt(0)
	s_barrier
	global_load_dword v183, v48, s[2:3] offset:920
	v_mov_b32_e32 v23, 0
	v_mov_b32_e32 v25, v23
	s_mov_b64 s[18:19], 0xf0
	v_add_co_u32_e32 v166, vcc, s20, v58
	v_addc_co_u32_e64 v177, s[20:21], 0, -1, vcc
	v_cmp_gt_u64_e32 vcc, s[18:19], v[24:25]
	v_lshrrev_b32_e32 v184, 18, v155
	v_cndmask_b32_e32 v187, v166, v24, vcc
	v_cndmask_b32_e64 v188, v177, 0, vcc
	v_mul_lo_u16_e32 v154, 0xf0, v184
	v_lshlrev_b64 v[177:178], 2, v[187:188]
	v_sub_u16_e32 v190, v153, v154
	v_lshrrev_b32_e32 v153, 18, v157
	v_mul_lo_u16_e32 v153, 0xf0, v153
	v_add_co_u32_e32 v177, vcc, s2, v177
	v_sub_u16_e32 v36, v36, v153
	v_mul_lo_u16_e32 v153, 0xf0, v220
	v_addc_co_u32_e32 v178, vcc, v28, v178, vcc
	v_sub_u16_e32 v221, v22, v153
	v_lshlrev_b32_e32 v153, 2, v221
	global_load_dword v166, v[177:178], off offset:920
	global_load_dword v157, v153, s[2:3] offset:920
	v_lshlrev_b32_e32 v154, 2, v190
	v_lshlrev_b32_e32 v36, 2, v36
	ds_read2st64_b32 v[191:192], v48 offset0:28 offset1:30
	global_load_dword v152, v152, s[2:3] offset:920
	s_nop 0
	global_load_dword v153, v36, s[2:3] offset:920
	s_nop 0
	;; [unrolled: 2-line block ×3, first 2 shown]
	global_load_dword v155, v222, s[2:3] offset:920
	global_load_dword v165, v48, s[2:3] offset:984
	ds_read2st64_b32 v[188:189], v48 offset1:2
	s_mov_b64 s[18:19], 0xef
	s_waitcnt lgkmcnt(1)
	v_lshrrev_b32_e32 v177, 16, v192
	v_cmp_lt_u64_e32 vcc, s[18:19], v[24:25]
	v_add_u32_e32 v197, 0x7c0, v48
	s_waitcnt lgkmcnt(0)
	v_lshrrev_b32_e32 v179, 16, v188
	s_movk_i32 s18, 0x1e0
	v_mad_legacy_u16 v184, v184, s18, v190
	s_movk_i32 s20, 0xffa0
	s_waitcnt vmcnt(7)
	v_mul_f16_sdwa v178, v192, v183 dst_sel:DWORD dst_unused:UNUSED_PAD src0_sel:DWORD src1_sel:WORD_1
	v_fma_f16 v178, v177, v183, v178
	v_mul_f16_sdwa v177, v177, v183 dst_sel:DWORD dst_unused:UNUSED_PAD src0_sel:DWORD src1_sel:WORD_1
	v_fma_f16 v177, v192, v183, -v177
	v_sub_f16_e32 v177, v188, v177
	v_sub_f16_e32 v178, v179, v178
	v_fma_f16 v180, v188, 2.0, -v177
	v_pack_b32_f16 v194, v177, v178
	v_lshrrev_b32_e32 v177, 19, v29
	v_mul_lo_u16_e32 v177, 0xf0, v177
	v_sub_u16_e32 v177, v175, v177
	v_lshlrev_b32_e32 v225, 2, v177
	v_mul_lo_u16_e32 v177, 0xf0, v226
	v_sub_u16_e32 v227, v134, v177
	v_lshrrev_b32_e32 v177, 19, v31
	v_mul_lo_u16_e32 v177, 0xf0, v177
	v_sub_u16_e32 v177, v174, v177
	v_lshlrev_b32_e32 v228, 2, v177
	v_mul_lo_u16_e32 v177, 0xf0, v229
	v_sub_u16_e32 v230, v176, v177
	;; [unrolled: 6-line block ×3, first 2 shown]
	v_lshrrev_b32_e32 v177, 19, v35
	v_mul_lo_u16_e32 v177, 0xf0, v177
	v_fma_f16 v179, v179, 2.0, -v178
	v_sub_u16_e32 v177, v185, v177
	v_pack_b32_f16 v188, v180, v179
	v_lshlrev_b32_e32 v180, 2, v230
	v_lshlrev_b32_e32 v178, 2, v233
	;; [unrolled: 1-line block ×4, first 2 shown]
	global_load_dword v177, v234, s[2:3] offset:920
	s_nop 0
	global_load_dword v178, v178, s[2:3] offset:920
	s_nop 0
	;; [unrolled: 2-line block ×6, first 2 shown]
	global_load_dword v186, v225, s[2:3] offset:920
	ds_read2st64_b32 v[192:193], v48 offset0:32 offset1:34
	ds_read2st64_b32 v[195:196], v48 offset0:4 offset1:6
	;; [unrolled: 1-line block ×13, first 2 shown]
	s_waitcnt vmcnt(0) lgkmcnt(0)
	s_barrier
	ds_write2_b32 v48, v188, v194 offset1:240
	v_mov_b32_e32 v188, 0x1e0
	v_cndmask_b32_e32 v24, 0, v188, vcc
	v_add_lshl_u32 v194, v24, v187, 2
	v_lshrrev_b32_e32 v24, 16, v192
	v_mul_f16_sdwa v25, v192, v166 dst_sel:DWORD dst_unused:UNUSED_PAD src0_sel:DWORD src1_sel:WORD_1
	v_fma_f16 v25, v24, v166, v25
	v_mul_f16_sdwa v24, v24, v166 dst_sel:DWORD dst_unused:UNUSED_PAD src0_sel:DWORD src1_sel:WORD_1
	v_fma_f16 v24, v192, v166, -v24
	v_lshrrev_b32_e32 v187, 16, v189
	v_sub_f16_e32 v24, v189, v24
	v_sub_f16_e32 v25, v187, v25
	v_fma_f16 v188, v189, 2.0, -v24
	v_fma_f16 v187, v187, 2.0, -v25
	v_pack_b32_f16 v187, v188, v187
	v_pack_b32_f16 v24, v24, v25
	ds_write2_b32 v194, v187, v24 offset1:240
	v_lshrrev_b32_e32 v24, 16, v193
	v_mul_f16_sdwa v25, v24, v165 dst_sel:DWORD dst_unused:UNUSED_PAD src0_sel:DWORD src1_sel:WORD_1
	v_mul_f16_sdwa v187, v193, v165 dst_sel:DWORD dst_unused:UNUSED_PAD src0_sel:DWORD src1_sel:WORD_1
	v_fma_f16 v25, v193, v165, -v25
	v_fma_f16 v24, v24, v165, v187
	v_lshrrev_b32_e32 v187, 16, v195
	v_sub_f16_e32 v25, v195, v25
	v_sub_f16_e32 v24, v187, v24
	v_fma_f16 v187, v187, 2.0, -v24
	v_fma_f16 v188, v195, 2.0, -v25
	v_pack_b32_f16 v187, v188, v187
	v_pack_b32_f16 v24, v25, v24
	ds_write2_b32 v197, v187, v24 offset1:240
	v_lshrrev_b32_e32 v24, 16, v198
	v_mul_f16_sdwa v25, v198, v157 dst_sel:DWORD dst_unused:UNUSED_PAD src0_sel:DWORD src1_sel:WORD_1
	v_fma_f16 v25, v24, v157, v25
	v_mul_f16_sdwa v24, v24, v157 dst_sel:DWORD dst_unused:UNUSED_PAD src0_sel:DWORD src1_sel:WORD_1
	v_fma_f16 v24, v198, v157, -v24
	v_lshrrev_b32_e32 v187, 16, v196
	v_sub_f16_e32 v24, v196, v24
	v_sub_f16_e32 v25, v187, v25
	v_fma_f16 v188, v196, 2.0, -v24
	v_mad_legacy_u16 v189, v220, s18, v221
	v_fma_f16 v187, v187, 2.0, -v25
	v_pack_b32_f16 v187, v188, v187
	v_pack_b32_f16 v24, v24, v25
	v_lshlrev_b32_e32 v198, 2, v189
	ds_write2_b32 v198, v187, v24 offset1:240
	v_lshrrev_b32_e32 v24, 16, v199
	v_mul_f16_sdwa v25, v24, v155 dst_sel:DWORD dst_unused:UNUSED_PAD src0_sel:DWORD src1_sel:WORD_1
	v_mul_f16_sdwa v187, v199, v155 dst_sel:DWORD dst_unused:UNUSED_PAD src0_sel:DWORD src1_sel:WORD_1
	v_fma_f16 v25, v199, v155, -v25
	v_fma_f16 v24, v24, v155, v187
	v_lshrrev_b32_e32 v187, 16, v200
	v_sub_f16_e32 v25, v200, v25
	v_sub_f16_e32 v24, v187, v24
	v_fma_f16 v187, v187, 2.0, -v24
	v_fma_f16 v188, v200, 2.0, -v25
	v_pack_b32_f16 v187, v188, v187
	v_pack_b32_f16 v24, v25, v24
	v_add_u32_e32 v199, 0xf00, v222
	ds_write2_b32 v199, v187, v24 offset1:240
	v_lshrrev_b32_e32 v24, 16, v202
	v_mul_f16_sdwa v25, v202, v154 dst_sel:DWORD dst_unused:UNUSED_PAD src0_sel:DWORD src1_sel:WORD_1
	v_fma_f16 v25, v24, v154, v25
	v_mul_f16_sdwa v24, v24, v154 dst_sel:DWORD dst_unused:UNUSED_PAD src0_sel:DWORD src1_sel:WORD_1
	v_fma_f16 v24, v202, v154, -v24
	v_lshrrev_b32_e32 v187, 16, v201
	v_sub_f16_e32 v24, v201, v24
	v_sub_f16_e32 v25, v187, v25
	v_fma_f16 v188, v201, 2.0, -v24
	v_fma_f16 v187, v187, 2.0, -v25
	v_pack_b32_f16 v187, v188, v187
	v_pack_b32_f16 v24, v24, v25
	v_lshlrev_b32_e32 v202, 2, v184
	ds_write2_b32 v202, v187, v24 offset1:240
	v_lshrrev_b32_e32 v24, 16, v203
	v_mul_f16_sdwa v25, v24, v153 dst_sel:DWORD dst_unused:UNUSED_PAD src0_sel:DWORD src1_sel:WORD_1
	v_mul_f16_sdwa v184, v203, v153 dst_sel:DWORD dst_unused:UNUSED_PAD src0_sel:DWORD src1_sel:WORD_1
	v_fma_f16 v25, v203, v153, -v25
	v_fma_f16 v24, v24, v153, v184
	v_lshrrev_b32_e32 v184, 16, v204
	v_sub_f16_e32 v25, v204, v25
	v_sub_f16_e32 v24, v184, v24
	v_fma_f16 v184, v184, 2.0, -v24
	v_fma_f16 v187, v204, 2.0, -v25
	v_pack_b32_f16 v184, v187, v184
	v_pack_b32_f16 v24, v25, v24
	v_add_u32_e32 v204, 0x1680, v36
	ds_write2_b32 v204, v184, v24 offset1:240
	v_lshrrev_b32_e32 v24, 16, v206
	v_mul_f16_sdwa v25, v206, v152 dst_sel:DWORD dst_unused:UNUSED_PAD src0_sel:DWORD src1_sel:WORD_1
	v_fma_f16 v25, v24, v152, v25
	v_mul_f16_sdwa v24, v24, v152 dst_sel:DWORD dst_unused:UNUSED_PAD src0_sel:DWORD src1_sel:WORD_1
	v_fma_f16 v24, v206, v152, -v24
	v_lshrrev_b32_e32 v36, 16, v205
	v_sub_f16_e32 v24, v205, v24
	v_sub_f16_e32 v25, v36, v25
	v_fma_f16 v184, v205, 2.0, -v24
	v_mad_legacy_u16 v187, v223, s18, v224
	v_fma_f16 v36, v36, 2.0, -v25
	v_pack_b32_f16 v36, v184, v36
	v_pack_b32_f16 v24, v24, v25
	v_lshlrev_b32_e32 v205, 2, v187
	ds_write2_b32 v205, v36, v24 offset1:240
	v_lshrrev_b32_e32 v24, 16, v207
	v_mul_f16_sdwa v25, v24, v186 dst_sel:DWORD dst_unused:UNUSED_PAD src0_sel:DWORD src1_sel:WORD_1
	v_mul_f16_sdwa v36, v207, v186 dst_sel:DWORD dst_unused:UNUSED_PAD src0_sel:DWORD src1_sel:WORD_1
	v_fma_f16 v25, v207, v186, -v25
	v_fma_f16 v24, v24, v186, v36
	v_lshrrev_b32_e32 v36, 16, v208
	v_sub_f16_e32 v25, v208, v25
	v_sub_f16_e32 v24, v36, v24
	v_fma_f16 v36, v36, 2.0, -v24
	v_fma_f16 v184, v208, 2.0, -v25
	v_pack_b32_f16 v36, v184, v36
	v_pack_b32_f16 v24, v25, v24
	v_add_u32_e32 v200, 0x1e00, v225
	ds_write2_b32 v200, v36, v24 offset1:240
	v_lshrrev_b32_e32 v24, 16, v210
	v_mul_f16_sdwa v25, v210, v182 dst_sel:DWORD dst_unused:UNUSED_PAD src0_sel:DWORD src1_sel:WORD_1
	v_fma_f16 v25, v24, v182, v25
	v_mul_f16_sdwa v24, v24, v182 dst_sel:DWORD dst_unused:UNUSED_PAD src0_sel:DWORD src1_sel:WORD_1
	v_fma_f16 v24, v210, v182, -v24
	v_lshrrev_b32_e32 v36, 16, v209
	v_sub_f16_e32 v24, v209, v24
	v_sub_f16_e32 v25, v36, v25
	v_fma_f16 v184, v209, 2.0, -v24
	v_mad_legacy_u16 v187, v226, s18, v227
	;; [unrolled: 29-line block ×4, first 2 shown]
	v_fma_f16 v36, v36, 2.0, -v25
	v_pack_b32_f16 v36, v189, v36
	v_pack_b32_f16 v24, v24, v25
	v_lshlrev_b32_e32 v189, 2, v192
	ds_write2_b32 v189, v36, v24 offset1:240
	v_lshrrev_b32_e32 v24, 16, v219
	v_mul_f16_sdwa v25, v24, v177 dst_sel:DWORD dst_unused:UNUSED_PAD src0_sel:DWORD src1_sel:WORD_1
	v_mul_f16_sdwa v36, v219, v177 dst_sel:DWORD dst_unused:UNUSED_PAD src0_sel:DWORD src1_sel:WORD_1
	v_fma_f16 v25, v219, v177, -v25
	v_fma_f16 v24, v24, v177, v36
	v_lshrrev_b32_e32 v36, 16, v191
	v_sub_f16_e32 v25, v191, v25
	v_sub_f16_e32 v24, v36, v24
	v_fma_f16 v191, v191, 2.0, -v25
	v_fma_f16 v36, v36, 2.0, -v24
	v_pack_b32_f16 v36, v191, v36
	v_pack_b32_f16 v24, v25, v24
	v_add_u32_e32 v191, 0x3480, v234
	ds_write2_b32 v191, v36, v24 offset1:240
	s_waitcnt lgkmcnt(0)
	s_barrier
	global_load_dword v211, v48, s[2:3] offset:1880
	global_load_dword v218, v48, s[2:3] offset:2904
	;; [unrolled: 1-line block ×4, first 2 shown]
	s_mov_b64 s[18:19], 0x1e0
	v_add_co_u32_e32 v24, vcc, s20, v58
	v_addc_co_u32_e64 v25, s[20:21], 0, -1, vcc
	v_cmp_gt_u64_e32 vcc, s[18:19], v[22:23]
	v_lshrrev_b32_e32 v29, 20, v29
	v_cndmask_b32_e32 v24, v24, v22, vcc
	v_cndmask_b32_e64 v25, v25, 0, vcc
	v_lshlrev_b64 v[192:193], 2, v[24:25]
	v_lshrrev_b32_e32 v25, 19, v27
	v_mul_lo_u16_e32 v27, 0x1e0, v25
	v_sub_u16_e32 v27, v26, v27
	v_add_co_u32_e32 v192, vcc, s2, v192
	v_lshlrev_b32_e32 v36, 2, v27
	v_mul_lo_u16_e32 v29, 0x1e0, v29
	v_addc_co_u32_e32 v193, vcc, v28, v193, vcc
	global_load_dword v196, v36, s[2:3] offset:1880
	global_load_dword v207, v[192:193], off offset:1880
	global_load_dword v201, v48, s[2:3] offset:3032
	global_load_dword v206, v48, s[2:3] offset:2008
	v_sub_u16_e32 v36, v175, v29
	v_lshrrev_b32_e32 v29, 20, v30
	v_mul_lo_u16_e32 v29, 0x1e0, v29
	v_sub_u16_e32 v134, v134, v29
	v_lshrrev_b32_e32 v29, 20, v31
	v_mul_lo_u16_e32 v29, 0x1e0, v29
	v_lshrrev_b32_e32 v216, 20, v32
	v_sub_u16_e32 v174, v174, v29
	v_mul_lo_u16_e32 v29, 0x1e0, v216
	v_sub_u16_e32 v237, v176, v29
	v_lshrrev_b32_e32 v29, 20, v33
	v_mul_lo_u16_e32 v29, 0x1e0, v29
	v_sub_u16_e32 v137, v137, v29
	v_lshrrev_b32_e32 v29, 20, v34
	v_mul_lo_u16_e32 v31, 0x1e0, v29
	ds_read2st64_b32 v[29:30], v48 offset0:28 offset1:30
	v_sub_u16_e32 v192, v173, v31
	v_lshrrev_b32_e32 v31, 20, v35
	v_mul_lo_u16_e32 v31, 0x1e0, v31
	v_sub_u16_e32 v35, v185, v31
	s_waitcnt lgkmcnt(0)
	v_lshrrev_b32_e32 v33, 16, v30
	ds_read2st64_b32 v[31:32], v48 offset0:32 offset1:34
	v_lshlrev_b32_e32 v174, 2, v174
	s_mov_b64 s[18:19], 0x1df
	v_cmp_lt_u64_e32 vcc, s[18:19], v[22:23]
	s_movk_i32 s18, 0x3c0
	s_waitcnt lgkmcnt(0)
	v_lshrrev_b32_e32 v175, 16, v31
	v_mad_legacy_u16 v25, v25, s18, v27
	v_lshrrev_b32_e32 v243, 16, v29
	s_waitcnt vmcnt(7)
	v_mul_f16_sdwa v34, v30, v211 dst_sel:DWORD dst_unused:UNUSED_PAD src0_sel:DWORD src1_sel:WORD_1
	v_fma_f16 v173, v33, v211, v34
	v_mul_f16_sdwa v33, v33, v211 dst_sel:DWORD dst_unused:UNUSED_PAD src0_sel:DWORD src1_sel:WORD_1
	v_fma_f16 v30, v30, v211, -v33
	ds_read2st64_b32 v[33:34], v48 offset1:2
	s_waitcnt vmcnt(5)
	v_mul_f16_sdwa v176, v31, v203 dst_sel:DWORD dst_unused:UNUSED_PAD src0_sel:DWORD src1_sel:WORD_1
	v_fma_f16 v176, v175, v203, v176
	v_mul_f16_sdwa v175, v175, v203 dst_sel:DWORD dst_unused:UNUSED_PAD src0_sel:DWORD src1_sel:WORD_1
	v_fma_f16 v31, v31, v203, -v175
	s_waitcnt lgkmcnt(0)
	v_sub_f16_e32 v185, v33, v30
	v_lshrrev_b32_e32 v30, 16, v33
	v_sub_f16_e32 v193, v34, v31
	v_lshrrev_b32_e32 v31, 16, v34
	v_sub_f16_e32 v217, v30, v173
	v_fma_f16 v33, v33, 2.0, -v185
	v_fma_f16 v30, v30, 2.0, -v217
	v_sub_f16_e32 v239, v31, v176
	v_fma_f16 v34, v34, 2.0, -v193
	v_pack_b32_f16 v238, v33, v30
	v_fma_f16 v30, v31, 2.0, -v239
	v_lshlrev_b32_e32 v176, 2, v36
	v_pack_b32_f16 v240, v34, v30
	v_lshlrev_b32_e32 v175, 2, v134
	v_lshlrev_b32_e32 v30, 2, v237
	;; [unrolled: 1-line block ×5, first 2 shown]
	global_load_dword v215, v176, s[2:3] offset:1880
	global_load_dword v213, v175, s[2:3] offset:1880
	;; [unrolled: 1-line block ×7, first 2 shown]
	v_lshrrev_b32_e32 v192, 16, v32
	ds_read2st64_b32 v[30:31], v48 offset0:4 offset1:6
	ds_read2st64_b32 v[33:34], v48 offset0:36 offset1:38
	ds_read2st64_b32 v[35:36], v48 offset0:8 offset1:10
	ds_read2st64_b32 v[219:220], v48 offset0:40 offset1:42
	ds_read2st64_b32 v[221:222], v48 offset0:12 offset1:14
	ds_read2st64_b32 v[223:224], v48 offset0:44 offset1:46
	ds_read2st64_b32 v[225:226], v48 offset0:16 offset1:18
	ds_read2st64_b32 v[227:228], v48 offset0:48 offset1:50
	ds_read2st64_b32 v[229:230], v48 offset0:20 offset1:22
	ds_read2st64_b32 v[231:232], v48 offset0:52 offset1:54
	ds_read2st64_b32 v[233:234], v48 offset0:24 offset1:26
	ds_read2st64_b32 v[235:236], v48 offset0:56 offset1:58
	s_waitcnt vmcnt(0) lgkmcnt(0)
	s_barrier
	ds_write2st64_b32 v48, v238, v240 offset1:2
	v_mul_f16_sdwa v238, v192, v218 dst_sel:DWORD dst_unused:UNUSED_PAD src0_sel:DWORD src1_sel:WORD_1
	v_fma_f16 v238, v32, v218, -v238
	v_mul_f16_sdwa v32, v32, v218 dst_sel:DWORD dst_unused:UNUSED_PAD src0_sel:DWORD src1_sel:WORD_1
	v_fma_f16 v32, v192, v218, v32
	v_pack_b32_f16 v185, v185, v217
	v_lshrrev_b32_e32 v217, 16, v30
	v_sub_f16_e32 v192, v30, v238
	v_sub_f16_e32 v32, v217, v32
	v_fma_f16 v217, v217, 2.0, -v32
	v_fma_f16 v30, v30, 2.0, -v192
	v_pack_b32_f16 v30, v30, v217
	v_add_u32_e32 v217, 0x400, v48
	ds_write2_b32 v217, v30, v185 offset1:224
	v_pack_b32_f16 v30, v193, v239
	v_pack_b32_f16 v32, v192, v32
	v_add_u32_e32 v185, 0x80, v48
	ds_write2st64_b32 v185, v30, v32 offset0:9 offset1:11
	v_mov_b32_e32 v30, 0x3c0
	v_cndmask_b32_e32 v22, 0, v30, vcc
	v_add_lshl_u32 v193, v22, v24, 2
	v_lshrrev_b32_e32 v22, 16, v33
	v_mul_f16_sdwa v24, v33, v207 dst_sel:DWORD dst_unused:UNUSED_PAD src0_sel:DWORD src1_sel:WORD_1
	v_fma_f16 v24, v22, v207, v24
	v_mul_f16_sdwa v22, v22, v207 dst_sel:DWORD dst_unused:UNUSED_PAD src0_sel:DWORD src1_sel:WORD_1
	v_lshrrev_b32_e32 v30, 16, v34
	v_fma_f16 v22, v33, v207, -v22
	v_mul_f16_sdwa v32, v30, v206 dst_sel:DWORD dst_unused:UNUSED_PAD src0_sel:DWORD src1_sel:WORD_1
	v_mul_f16_sdwa v33, v34, v206 dst_sel:DWORD dst_unused:UNUSED_PAD src0_sel:DWORD src1_sel:WORD_1
	v_fma_f16 v32, v34, v206, -v32
	v_fma_f16 v30, v30, v206, v33
	v_lshrrev_b32_e32 v33, 16, v31
	v_lshrrev_b32_e32 v34, 16, v219
	v_mul_f16_sdwa v192, v219, v195 dst_sel:DWORD dst_unused:UNUSED_PAD src0_sel:DWORD src1_sel:WORD_1
	v_sub_f16_e32 v22, v31, v22
	v_fma_f16 v192, v34, v195, v192
	v_mul_f16_sdwa v34, v34, v195 dst_sel:DWORD dst_unused:UNUSED_PAD src0_sel:DWORD src1_sel:WORD_1
	v_sub_f16_e32 v24, v33, v24
	v_fma_f16 v31, v31, 2.0, -v22
	v_fma_f16 v34, v219, v195, -v34
	v_lshrrev_b32_e32 v219, 16, v35
	v_lshrrev_b32_e32 v238, 16, v36
	v_fma_f16 v33, v33, 2.0, -v24
	v_pack_b32_f16 v22, v22, v24
	v_sub_f16_e32 v32, v35, v32
	v_sub_f16_e32 v34, v36, v34
	v_pack_b32_f16 v31, v31, v33
	ds_write_b32 v193, v22 offset:1920
	v_sub_f16_e32 v22, v219, v30
	v_sub_f16_e32 v30, v238, v192
	v_fma_f16 v35, v35, 2.0, -v32
	v_fma_f16 v36, v36, 2.0, -v34
	ds_write_b32 v193, v31
	v_fma_f16 v24, v219, 2.0, -v22
	v_fma_f16 v31, v238, 2.0, -v30
	v_pack_b32_f16 v24, v35, v24
	v_pack_b32_f16 v31, v36, v31
	ds_write2st64_b32 v185, v24, v31 offset0:15 offset1:17
	v_lshrrev_b32_e32 v24, 16, v220
	v_mul_f16_sdwa v31, v24, v201 dst_sel:DWORD dst_unused:UNUSED_PAD src0_sel:DWORD src1_sel:WORD_1
	v_mul_f16_sdwa v33, v220, v201 dst_sel:DWORD dst_unused:UNUSED_PAD src0_sel:DWORD src1_sel:WORD_1
	v_fma_f16 v31, v220, v201, -v31
	v_fma_f16 v24, v24, v201, v33
	v_pack_b32_f16 v22, v32, v22
	v_lshrrev_b32_e32 v32, 16, v221
	v_sub_f16_e32 v31, v221, v31
	v_sub_f16_e32 v24, v32, v24
	v_fma_f16 v32, v32, 2.0, -v24
	v_fma_f16 v33, v221, 2.0, -v31
	v_pack_b32_f16 v32, v33, v32
	v_add_u32_e32 v192, 0x1380, v48
	ds_write2_b32 v192, v32, v22 offset1:224
	v_pack_b32_f16 v22, v34, v30
	v_lshrrev_b32_e32 v30, 16, v224
	v_mul_f16_sdwa v32, v224, v215 dst_sel:DWORD dst_unused:UNUSED_PAD src0_sel:DWORD src1_sel:WORD_1
	v_lshrrev_b32_e32 v34, 16, v228
	v_mul_f16_sdwa v36, v228, v214 dst_sel:DWORD dst_unused:UNUSED_PAD src0_sel:DWORD src1_sel:WORD_1
	v_pack_b32_f16 v24, v31, v24
	v_mul_f16_sdwa v31, v30, v215 dst_sel:DWORD dst_unused:UNUSED_PAD src0_sel:DWORD src1_sel:WORD_1
	v_fma_f16 v30, v30, v215, v32
	v_lshrrev_b32_e32 v32, 16, v227
	v_mul_f16_sdwa v33, v227, v213 dst_sel:DWORD dst_unused:UNUSED_PAD src0_sel:DWORD src1_sel:WORD_1
	v_mul_f16_sdwa v35, v34, v214 dst_sel:DWORD dst_unused:UNUSED_PAD src0_sel:DWORD src1_sel:WORD_1
	v_fma_f16 v34, v34, v214, v36
	v_lshrrev_b32_e32 v36, 16, v231
	v_mul_f16_sdwa v219, v231, v212 dst_sel:DWORD dst_unused:UNUSED_PAD src0_sel:DWORD src1_sel:WORD_1
	ds_write2st64_b32 v48, v22, v24 offset0:25 offset1:27
	v_lshrrev_b32_e32 v22, 16, v223
	v_mul_f16_sdwa v24, v223, v196 dst_sel:DWORD dst_unused:UNUSED_PAD src0_sel:DWORD src1_sel:WORD_1
	v_fma_f16 v33, v32, v213, v33
	v_mul_f16_sdwa v32, v32, v213 dst_sel:DWORD dst_unused:UNUSED_PAD src0_sel:DWORD src1_sel:WORD_1
	v_fma_f16 v219, v36, v212, v219
	;; [unrolled: 2-line block ×3, first 2 shown]
	v_mul_f16_sdwa v22, v22, v196 dst_sel:DWORD dst_unused:UNUSED_PAD src0_sel:DWORD src1_sel:WORD_1
	v_fma_f16 v32, v227, v213, -v32
	v_fma_f16 v36, v231, v212, -v36
	v_lshrrev_b32_e32 v220, 16, v232
	v_lshrrev_b32_e32 v227, 16, v236
	v_mul_f16_sdwa v231, v236, v208 dst_sel:DWORD dst_unused:UNUSED_PAD src0_sel:DWORD src1_sel:WORD_1
	v_fma_f16 v22, v223, v196, -v22
	v_fma_f16 v35, v228, v214, -v35
	v_mul_f16_sdwa v221, v220, v210 dst_sel:DWORD dst_unused:UNUSED_PAD src0_sel:DWORD src1_sel:WORD_1
	v_mul_f16_sdwa v228, v227, v208 dst_sel:DWORD dst_unused:UNUSED_PAD src0_sel:DWORD src1_sel:WORD_1
	v_fma_f16 v227, v227, v208, v231
	v_lshrrev_b32_e32 v231, 16, v222
	v_fma_f16 v221, v232, v210, -v221
	v_mul_f16_sdwa v223, v232, v210 dst_sel:DWORD dst_unused:UNUSED_PAD src0_sel:DWORD src1_sel:WORD_1
	v_sub_f16_e32 v22, v222, v22
	v_sub_f16_e32 v24, v231, v24
	v_fma_f16 v31, v224, v215, -v31
	v_fma_f16 v220, v220, v210, v223
	v_lshrrev_b32_e32 v223, 16, v235
	v_mul_f16_sdwa v224, v235, v209 dst_sel:DWORD dst_unused:UNUSED_PAD src0_sel:DWORD src1_sel:WORD_1
	v_fma_f16 v222, v222, 2.0, -v22
	v_lshrrev_b32_e32 v232, 16, v225
	v_sub_f16_e32 v239, v233, v221
	v_lshlrev_b32_e32 v221, 2, v25
	v_pack_b32_f16 v22, v22, v24
	v_fma_f16 v224, v223, v209, v224
	v_mul_f16_sdwa v223, v223, v209 dst_sel:DWORD dst_unused:UNUSED_PAD src0_sel:DWORD src1_sel:WORD_1
	v_sub_f16_e32 v31, v225, v31
	v_fma_f16 v27, v231, 2.0, -v24
	ds_write_b32 v221, v22 offset:1920
	v_sub_f16_e32 v22, v232, v30
	v_fma_f16 v223, v235, v209, -v223
	v_lshrrev_b32_e32 v235, 16, v226
	v_fma_f16 v225, v225, 2.0, -v31
	v_pack_b32_f16 v27, v222, v27
	v_fma_f16 v24, v232, 2.0, -v22
	v_pack_b32_f16 v22, v31, v22
	v_sub_f16_e32 v32, v226, v32
	ds_write_b32 v221, v27
	v_pack_b32_f16 v24, v225, v24
	ds_write_b32 v176, v22 offset:9600
	v_sub_f16_e32 v22, v235, v33
	v_fma_f16 v228, v236, v208, -v228
	v_fma_f16 v226, v226, 2.0, -v32
	v_lshrrev_b32_e32 v236, 16, v229
	ds_write_b32 v176, v24 offset:7680
	v_fma_f16 v24, v235, 2.0, -v22
	v_pack_b32_f16 v22, v32, v22
	v_sub_f16_e32 v35, v229, v35
	v_pack_b32_f16 v24, v226, v24
	ds_write_b32 v175, v22 offset:9600
	v_sub_f16_e32 v22, v236, v34
	v_fma_f16 v229, v229, 2.0, -v35
	ds_write_b32 v175, v24 offset:7680
	v_fma_f16 v24, v236, 2.0, -v22
	v_lshrrev_b32_e32 v238, 16, v230
	v_pack_b32_f16 v24, v229, v24
	v_pack_b32_f16 v22, v35, v22
	v_sub_f16_e32 v36, v230, v36
	ds_write_b32 v174, v24 offset:7680
	ds_write_b32 v174, v22 offset:9600
	v_mad_legacy_u16 v22, v216, s18, v237
	v_sub_f16_e32 v24, v238, v219
	v_sub_f16_e32 v240, v234, v223
	v_lshrrev_b32_e32 v241, 16, v233
	v_lshlrev_b32_e32 v223, 2, v22
	v_pack_b32_f16 v22, v36, v24
	v_fma_f16 v230, v230, 2.0, -v36
	v_fma_f16 v25, v238, 2.0, -v24
	ds_write_b32 v223, v22 offset:1920
	v_sub_f16_e32 v22, v241, v220
	v_lshrrev_b32_e32 v242, 16, v234
	v_fma_f16 v233, v233, 2.0, -v239
	v_pack_b32_f16 v25, v230, v25
	v_fma_f16 v24, v241, 2.0, -v22
	v_pack_b32_f16 v22, v239, v22
	ds_write_b32 v223, v25
	v_pack_b32_f16 v24, v233, v24
	ds_write_b32 v173, v22 offset:13440
	v_sub_f16_e32 v22, v242, v224
	v_fma_f16 v234, v234, 2.0, -v240
	ds_write_b32 v173, v24 offset:11520
	v_fma_f16 v24, v242, 2.0, -v22
	v_pack_b32_f16 v22, v240, v22
	v_sub_f16_e32 v228, v29, v228
	v_pack_b32_f16 v24, v234, v24
	ds_write_b32 v137, v22 offset:13440
	v_sub_f16_e32 v22, v243, v227
	v_fma_f16 v29, v29, 2.0, -v228
	ds_write_b32 v137, v24 offset:11520
	v_fma_f16 v24, v243, 2.0, -v22
	v_pack_b32_f16 v24, v29, v24
	v_pack_b32_f16 v22, v228, v22
	ds_write_b32 v134, v24 offset:11520
	ds_write_b32 v134, v22 offset:13440
	s_waitcnt lgkmcnt(0)
	s_barrier
	global_load_dword v216, v48, s[2:3] offset:3800
	v_add_co_u32_e32 v22, vcc, s2, v48
	v_addc_co_u32_e32 v24, vcc, 0, v28, vcc
	s_movk_i32 s18, 0x1000
	v_add_co_u32_e32 v29, vcc, s18, v22
	v_addc_co_u32_e32 v30, vcc, 0, v24, vcc
	global_load_dword v229, v[29:30], off offset:1240
	global_load_dword v232, v[29:30], off offset:728
	global_load_dword v235, v[29:30], off offset:216
	global_load_dword v220, v[29:30], off offset:984
	global_load_dword v222, v[29:30], off offset:472
	global_load_dword v219, v[29:30], off offset:1496
	global_load_dword v224, v48, s[2:3] offset:4056
	global_load_dword v230, v[29:30], off offset:1752
	global_load_dword v231, v[29:30], off offset:2264
	global_load_dword v233, v[29:30], off offset:2776
	ds_read2st64_b32 v[34:35], v48 offset0:28 offset1:30
	s_movk_i32 s3, 0xffc0
	v_mov_b32_e32 v27, v23
	s_mov_b64 s[18:19], 0x3c0
	v_add_co_u32_e32 v23, vcc, s3, v58
	v_addc_co_u32_e64 v25, s[20:21], 0, -1, vcc
	v_cmp_gt_u64_e32 vcc, s[18:19], v[26:27]
	ds_read2st64_b32 v[227:228], v48 offset0:32 offset1:34
	v_cndmask_b32_e32 v31, v23, v26, vcc
	v_cndmask_b32_e64 v32, v25, 0, vcc
	s_waitcnt lgkmcnt(1)
	v_lshrrev_b32_e32 v23, 16, v35
	v_lshlrev_b64 v[32:33], 2, v[31:32]
	v_add_co_u32_e32 v32, vcc, s2, v32
	v_addc_co_u32_e32 v33, vcc, v28, v33, vcc
	s_waitcnt lgkmcnt(0)
	v_lshrrev_b32_e32 v28, 16, v227
	s_mov_b64 s[2:3], 0x3bf
	v_cmp_lt_u64_e32 vcc, s[2:3], v[26:27]
	s_movk_i32 s2, 0x2000
	s_mov_b32 s3, 0xba79
	s_waitcnt vmcnt(10)
	v_mul_f16_sdwa v25, v35, v216 dst_sel:DWORD dst_unused:UNUSED_PAD src0_sel:DWORD src1_sel:WORD_1
	v_fma_f16 v25, v23, v216, v25
	v_mul_f16_sdwa v23, v23, v216 dst_sel:DWORD dst_unused:UNUSED_PAD src0_sel:DWORD src1_sel:WORD_1
	v_fma_f16 v23, v35, v216, -v23
	ds_read2st64_b32 v[35:36], v48 offset1:2
	s_waitcnt vmcnt(7)
	v_mul_f16_sdwa v225, v227, v235 dst_sel:DWORD dst_unused:UNUSED_PAD src0_sel:DWORD src1_sel:WORD_1
	v_fma_f16 v225, v28, v235, v225
	v_mul_f16_sdwa v28, v28, v235 dst_sel:DWORD dst_unused:UNUSED_PAD src0_sel:DWORD src1_sel:WORD_1
	s_waitcnt lgkmcnt(0)
	v_lshrrev_b32_e32 v226, 16, v35
	v_fma_f16 v28, v227, v235, -v28
	v_sub_f16_e32 v23, v35, v23
	v_lshrrev_b32_e32 v227, 16, v36
	v_sub_f16_e32 v25, v226, v25
	v_fma_f16 v35, v35, 2.0, -v23
	v_fma_f16 v226, v226, 2.0, -v25
	v_sub_f16_e32 v51, v227, v225
	v_pack_b32_f16 v0, v35, v226
	v_fma_f16 v35, v227, 2.0, -v51
	global_load_dword v234, v[32:33], off offset:3800
	global_load_dword v225, v[29:30], off offset:3032
	;; [unrolled: 1-line block ×4, first 2 shown]
	v_sub_f16_e32 v28, v36, v28
	v_fma_f16 v36, v36, 2.0, -v28
	v_pack_b32_f16 v90, v36, v35
	ds_read2st64_b32 v[32:33], v48 offset0:4 offset1:6
	ds_read2st64_b32 v[35:36], v48 offset0:36 offset1:38
	;; [unrolled: 1-line block ×12, first 2 shown]
	s_waitcnt vmcnt(0) lgkmcnt(0)
	s_barrier
	ds_write2st64_b32 v48, v0, v90 offset1:2
	v_lshrrev_b32_e32 v0, 16, v228
	v_mul_f16_sdwa v90, v0, v232 dst_sel:DWORD dst_unused:UNUSED_PAD src0_sel:DWORD src1_sel:WORD_1
	v_fma_f16 v90, v228, v232, -v90
	v_mul_f16_sdwa v228, v228, v232 dst_sel:DWORD dst_unused:UNUSED_PAD src0_sel:DWORD src1_sel:WORD_1
	v_fma_f16 v0, v0, v232, v228
	v_pack_b32_f16 v28, v28, v51
	v_sub_f16_e32 v51, v32, v90
	v_lshrrev_b32_e32 v90, 16, v32
	v_sub_f16_e32 v0, v90, v0
	v_pack_b32_f16 v228, v51, v0
	ds_write2st64_b32 v48, v28, v228 offset0:17 offset1:19
	v_fma_f16 v0, v90, 2.0, -v0
	v_lshrrev_b32_e32 v28, 16, v35
	v_mul_f16_sdwa v90, v35, v229 dst_sel:DWORD dst_unused:UNUSED_PAD src0_sel:DWORD src1_sel:WORD_1
	v_fma_f16 v90, v28, v229, v90
	v_mul_f16_sdwa v28, v28, v229 dst_sel:DWORD dst_unused:UNUSED_PAD src0_sel:DWORD src1_sel:WORD_1
	v_fma_f16 v28, v35, v229, -v28
	v_fma_f16 v32, v32, 2.0, -v51
	v_lshrrev_b32_e32 v35, 16, v33
	v_sub_f16_e32 v28, v33, v28
	v_pack_b32_f16 v0, v32, v0
	v_sub_f16_e32 v32, v35, v90
	v_fma_f16 v33, v33, 2.0, -v28
	v_fma_f16 v35, v35, 2.0, -v32
	v_pack_b32_f16 v33, v33, v35
	ds_write2st64_b32 v48, v0, v33 offset0:4 offset1:6
	v_lshrrev_b32_e32 v0, 16, v36
	v_mul_f16_sdwa v33, v0, v230 dst_sel:DWORD dst_unused:UNUSED_PAD src0_sel:DWORD src1_sel:WORD_1
	v_fma_f16 v33, v36, v230, -v33
	v_mul_f16_sdwa v35, v36, v230 dst_sel:DWORD dst_unused:UNUSED_PAD src0_sel:DWORD src1_sel:WORD_1
	v_fma_f16 v0, v0, v230, v35
	v_pack_b32_f16 v28, v28, v32
	v_sub_f16_e32 v32, v236, v33
	v_lshrrev_b32_e32 v33, 16, v236
	v_sub_f16_e32 v0, v33, v0
	v_pack_b32_f16 v35, v32, v0
	ds_write2st64_b32 v48, v28, v35 offset0:21 offset1:23
	v_fma_f16 v0, v33, 2.0, -v0
	v_lshrrev_b32_e32 v28, 16, v238
	v_mul_f16_sdwa v33, v238, v231 dst_sel:DWORD dst_unused:UNUSED_PAD src0_sel:DWORD src1_sel:WORD_1
	v_fma_f16 v33, v28, v231, v33
	v_mul_f16_sdwa v28, v28, v231 dst_sel:DWORD dst_unused:UNUSED_PAD src0_sel:DWORD src1_sel:WORD_1
	v_fma_f16 v28, v238, v231, -v28
	v_fma_f16 v32, v236, 2.0, -v32
	v_lshrrev_b32_e32 v35, 16, v237
	v_sub_f16_e32 v28, v237, v28
	v_pack_b32_f16 v0, v32, v0
	v_sub_f16_e32 v32, v35, v33
	v_fma_f16 v36, v237, 2.0, -v28
	v_fma_f16 v33, v35, 2.0, -v32
	v_pack_b32_f16 v33, v36, v33
	ds_write2st64_b32 v48, v0, v33 offset0:8 offset1:10
	v_lshrrev_b32_e32 v0, 16, v239
	v_mul_f16_sdwa v33, v0, v233 dst_sel:DWORD dst_unused:UNUSED_PAD src0_sel:DWORD src1_sel:WORD_1
	v_fma_f16 v33, v239, v233, -v33
	v_mul_f16_sdwa v35, v239, v233 dst_sel:DWORD dst_unused:UNUSED_PAD src0_sel:DWORD src1_sel:WORD_1
	v_fma_f16 v0, v0, v233, v35
	v_pack_b32_f16 v23, v23, v25
	v_sub_f16_e32 v25, v240, v33
	v_lshrrev_b32_e32 v33, 16, v240
	v_sub_f16_e32 v0, v33, v0
	v_fma_f16 v33, v33, 2.0, -v0
	v_fma_f16 v35, v240, 2.0, -v25
	v_pack_b32_f16 v33, v35, v33
	ds_write2st64_b32 v48, v33, v23 offset0:12 offset1:15
	v_pack_b32_f16 v23, v28, v32
	v_pack_b32_f16 v0, v25, v0
	ds_write2st64_b32 v48, v23, v0 offset0:25 offset1:27
	v_mov_b32_e32 v0, 0x780
	v_cndmask_b32_e32 v0, 0, v0, vcc
	v_add_lshl_u32 v228, v0, v31, 2
	v_lshrrev_b32_e32 v0, 16, v242
	v_mul_f16_sdwa v23, v242, v234 dst_sel:DWORD dst_unused:UNUSED_PAD src0_sel:DWORD src1_sel:WORD_1
	v_fma_f16 v23, v0, v234, v23
	v_mul_f16_sdwa v0, v0, v234 dst_sel:DWORD dst_unused:UNUSED_PAD src0_sel:DWORD src1_sel:WORD_1
	v_fma_f16 v0, v242, v234, -v0
	v_lshrrev_b32_e32 v25, 16, v241
	v_sub_f16_e32 v0, v241, v0
	v_sub_f16_e32 v23, v25, v23
	v_fma_f16 v26, v241, 2.0, -v0
	v_fma_f16 v25, v25, 2.0, -v23
	v_pack_b32_f16 v25, v26, v25
	v_pack_b32_f16 v0, v0, v23
	ds_write2st64_b32 v228, v25, v0 offset1:15
	v_lshrrev_b32_e32 v0, 16, v243
	v_mul_f16_sdwa v25, v243, v224 dst_sel:DWORD dst_unused:UNUSED_PAD src0_sel:DWORD src1_sel:WORD_1
	v_mul_f16_sdwa v23, v0, v224 dst_sel:DWORD dst_unused:UNUSED_PAD src0_sel:DWORD src1_sel:WORD_1
	v_fma_f16 v0, v0, v224, v25
	v_lshrrev_b32_e32 v25, 16, v246
	v_mul_f16_sdwa v26, v246, v222 dst_sel:DWORD dst_unused:UNUSED_PAD src0_sel:DWORD src1_sel:WORD_1
	v_fma_f16 v26, v25, v222, v26
	v_mul_f16_sdwa v25, v25, v222 dst_sel:DWORD dst_unused:UNUSED_PAD src0_sel:DWORD src1_sel:WORD_1
	v_fma_f16 v23, v243, v224, -v23
	v_fma_f16 v25, v246, v222, -v25
	v_lshrrev_b32_e32 v27, 16, v244
	v_lshrrev_b32_e32 v28, 16, v245
	v_sub_f16_e32 v23, v244, v23
	v_sub_f16_e32 v25, v245, v25
	;; [unrolled: 1-line block ×4, first 2 shown]
	v_fma_f16 v31, v244, 2.0, -v23
	v_fma_f16 v32, v245, 2.0, -v25
	v_fma_f16 v27, v27, 2.0, -v0
	v_fma_f16 v28, v28, 2.0, -v26
	v_pack_b32_f16 v27, v31, v27
	v_pack_b32_f16 v28, v32, v28
	ds_write2st64_b32 v48, v27, v28 offset0:31 offset1:33
	v_lshrrev_b32_e32 v27, 16, v247
	v_mul_f16_sdwa v28, v27, v220 dst_sel:DWORD dst_unused:UNUSED_PAD src0_sel:DWORD src1_sel:WORD_1
	v_fma_f16 v28, v247, v220, -v28
	v_mul_f16_sdwa v31, v247, v220 dst_sel:DWORD dst_unused:UNUSED_PAD src0_sel:DWORD src1_sel:WORD_1
	v_fma_f16 v27, v27, v220, v31
	v_pack_b32_f16 v25, v25, v26
	v_sub_f16_e32 v26, v248, v28
	v_lshrrev_b32_e32 v28, 16, v248
	v_sub_f16_e32 v27, v28, v27
	v_pack_b32_f16 v31, v26, v27
	ds_write2st64_b32 v48, v25, v31 offset0:48 offset1:50
	v_fma_f16 v25, v28, 2.0, -v27
	v_lshrrev_b32_e32 v27, 16, v250
	v_mul_f16_sdwa v28, v250, v219 dst_sel:DWORD dst_unused:UNUSED_PAD src0_sel:DWORD src1_sel:WORD_1
	v_fma_f16 v28, v27, v219, v28
	v_mul_f16_sdwa v27, v27, v219 dst_sel:DWORD dst_unused:UNUSED_PAD src0_sel:DWORD src1_sel:WORD_1
	v_fma_f16 v27, v250, v219, -v27
	v_fma_f16 v26, v248, 2.0, -v26
	v_lshrrev_b32_e32 v31, 16, v249
	v_sub_f16_e32 v27, v249, v27
	v_pack_b32_f16 v25, v26, v25
	v_sub_f16_e32 v26, v31, v28
	v_fma_f16 v32, v249, 2.0, -v27
	v_fma_f16 v28, v31, 2.0, -v26
	v_pack_b32_f16 v28, v32, v28
	ds_write2st64_b32 v48, v25, v28 offset0:35 offset1:37
	v_lshrrev_b32_e32 v25, 16, v251
	v_mul_f16_sdwa v28, v25, v227 dst_sel:DWORD dst_unused:UNUSED_PAD src0_sel:DWORD src1_sel:WORD_1
	v_fma_f16 v28, v251, v227, -v28
	v_mul_f16_sdwa v31, v251, v227 dst_sel:DWORD dst_unused:UNUSED_PAD src0_sel:DWORD src1_sel:WORD_1
	v_fma_f16 v25, v25, v227, v31
	v_pack_b32_f16 v26, v27, v26
	v_sub_f16_e32 v27, v252, v28
	v_lshrrev_b32_e32 v28, 16, v252
	v_sub_f16_e32 v25, v28, v25
	v_pack_b32_f16 v31, v27, v25
	ds_write2st64_b32 v48, v26, v31 offset0:52 offset1:54
	v_fma_f16 v25, v28, 2.0, -v25
	v_lshrrev_b32_e32 v26, 16, v254
	v_mul_f16_sdwa v28, v254, v226 dst_sel:DWORD dst_unused:UNUSED_PAD src0_sel:DWORD src1_sel:WORD_1
	v_fma_f16 v28, v26, v226, v28
	v_mul_f16_sdwa v26, v26, v226 dst_sel:DWORD dst_unused:UNUSED_PAD src0_sel:DWORD src1_sel:WORD_1
	v_fma_f16 v26, v254, v226, -v26
	v_fma_f16 v27, v252, 2.0, -v27
	v_lshrrev_b32_e32 v31, 16, v253
	v_sub_f16_e32 v26, v253, v26
	v_pack_b32_f16 v25, v27, v25
	v_sub_f16_e32 v27, v31, v28
	v_fma_f16 v32, v253, 2.0, -v26
	v_fma_f16 v28, v31, 2.0, -v27
	v_pack_b32_f16 v28, v32, v28
	ds_write2st64_b32 v48, v25, v28 offset0:39 offset1:41
	v_lshrrev_b32_e32 v25, 16, v255
	v_mul_f16_sdwa v28, v25, v225 dst_sel:DWORD dst_unused:UNUSED_PAD src0_sel:DWORD src1_sel:WORD_1
	v_mul_f16_sdwa v31, v255, v225 dst_sel:DWORD dst_unused:UNUSED_PAD src0_sel:DWORD src1_sel:WORD_1
	v_fma_f16 v28, v255, v225, -v28
	v_fma_f16 v25, v25, v225, v31
	v_lshrrev_b32_e32 v31, 16, v34
	v_sub_f16_e32 v28, v34, v28
	v_pack_b32_f16 v0, v23, v0
	v_sub_f16_e32 v23, v31, v25
	v_fma_f16 v32, v34, 2.0, -v28
	v_fma_f16 v25, v31, 2.0, -v23
	v_pack_b32_f16 v25, v32, v25
	ds_write2st64_b32 v48, v25, v0 offset0:43 offset1:46
	v_pack_b32_f16 v0, v26, v27
	v_pack_b32_f16 v23, v28, v23
	ds_write2st64_b32 v48, v0, v23 offset0:56 offset1:58
	s_waitcnt lgkmcnt(0)
	s_barrier
	global_load_dword v238, v[29:30], off offset:3544
	global_load_dword v239, v[29:30], off offset:4056
	v_add_co_u32_e32 v25, vcc, s2, v22
	v_addc_co_u32_e32 v26, vcc, 0, v24, vcc
	global_load_dword v240, v[25:26], off offset:472
	global_load_dword v237, v[25:26], off offset:984
	;; [unrolled: 1-line block ×4, first 2 shown]
	ds_read2st64_b32 v[27:28], v48 offset0:28 offset1:30
	global_load_dword v242, v[25:26], off offset:2520
	global_load_dword v241, v[25:26], off offset:3032
	ds_read2st64_b32 v[29:30], v48 offset0:32 offset1:34
	ds_read2st64_b32 v[31:32], v48 offset1:2
	global_load_dword v244, v[25:26], off offset:3544
	global_load_dword v245, v[25:26], off offset:4056
	s_waitcnt lgkmcnt(2)
	v_lshrrev_b32_e32 v0, 16, v28
	s_movk_i32 s2, 0x3000
	v_add_co_u32_e32 v22, vcc, s2, v22
	s_mov_b32 s2, 0xb4f2
	s_waitcnt vmcnt(9)
	v_mul_f16_sdwa v23, v28, v238 dst_sel:DWORD dst_unused:UNUSED_PAD src0_sel:DWORD src1_sel:WORD_1
	v_fma_f16 v23, v0, v238, v23
	v_mul_f16_sdwa v0, v0, v238 dst_sel:DWORD dst_unused:UNUSED_PAD src0_sel:DWORD src1_sel:WORD_1
	v_fma_f16 v0, v28, v238, -v0
	s_waitcnt lgkmcnt(1)
	v_lshrrev_b32_e32 v28, 16, v29
	s_waitcnt vmcnt(8)
	v_mul_f16_sdwa v33, v29, v239 dst_sel:DWORD dst_unused:UNUSED_PAD src0_sel:DWORD src1_sel:WORD_1
	v_fma_f16 v33, v28, v239, v33
	v_mul_f16_sdwa v28, v28, v239 dst_sel:DWORD dst_unused:UNUSED_PAD src0_sel:DWORD src1_sel:WORD_1
	v_fma_f16 v28, v29, v239, -v28
	s_waitcnt lgkmcnt(0)
	v_sub_f16_e32 v34, v32, v28
	v_lshrrev_b32_e32 v28, 16, v31
	v_sub_f16_e32 v0, v31, v0
	v_sub_f16_e32 v35, v28, v23
	v_lshrrev_b32_e32 v29, 16, v32
	v_fma_f16 v31, v31, 2.0, -v0
	v_fma_f16 v23, v28, 2.0, -v35
	v_pack_b32_f16 v23, v31, v23
	v_sub_f16_e32 v31, v29, v33
	v_fma_f16 v32, v32, 2.0, -v34
	v_fma_f16 v28, v29, 2.0, -v31
	v_pack_b32_f16 v28, v32, v28
	ds_write2st64_b32 v48, v23, v28 offset1:2
	v_lshrrev_b32_e32 v23, 16, v30
	ds_read2st64_b32 v[28:29], v48 offset0:4 offset1:6
	s_waitcnt vmcnt(7)
	v_mul_f16_sdwa v32, v23, v240 dst_sel:DWORD dst_unused:UNUSED_PAD src0_sel:DWORD src1_sel:WORD_1
	v_fma_f16 v32, v30, v240, -v32
	v_mul_f16_sdwa v30, v30, v240 dst_sel:DWORD dst_unused:UNUSED_PAD src0_sel:DWORD src1_sel:WORD_1
	v_fma_f16 v23, v23, v240, v30
	v_pack_b32_f16 v33, v34, v31
	ds_read2st64_b32 v[30:31], v48 offset0:36 offset1:38
	s_waitcnt lgkmcnt(1)
	v_lshrrev_b32_e32 v34, 16, v28
	v_sub_f16_e32 v32, v28, v32
	v_sub_f16_e32 v23, v34, v23
	v_pack_b32_f16 v36, v32, v23
	ds_write2st64_b32 v48, v33, v36 offset0:32 offset1:34
	v_fma_f16 v23, v34, 2.0, -v23
	s_waitcnt lgkmcnt(1)
	v_lshrrev_b32_e32 v33, 16, v30
	s_waitcnt vmcnt(6)
	v_mul_f16_sdwa v34, v30, v237 dst_sel:DWORD dst_unused:UNUSED_PAD src0_sel:DWORD src1_sel:WORD_1
	v_fma_f16 v34, v33, v237, v34
	v_mul_f16_sdwa v33, v33, v237 dst_sel:DWORD dst_unused:UNUSED_PAD src0_sel:DWORD src1_sel:WORD_1
	v_fma_f16 v30, v30, v237, -v33
	v_fma_f16 v28, v28, 2.0, -v32
	v_lshrrev_b32_e32 v32, 16, v29
	v_sub_f16_e32 v30, v29, v30
	v_pack_b32_f16 v23, v28, v23
	v_sub_f16_e32 v28, v32, v34
	v_fma_f16 v29, v29, 2.0, -v30
	v_fma_f16 v32, v32, 2.0, -v28
	v_pack_b32_f16 v29, v29, v32
	ds_write2st64_b32 v48, v23, v29 offset0:4 offset1:6
	v_lshrrev_b32_e32 v23, 16, v31
	s_waitcnt vmcnt(5)
	v_mul_f16_sdwa v29, v23, v236 dst_sel:DWORD dst_unused:UNUSED_PAD src0_sel:DWORD src1_sel:WORD_1
	v_fma_f16 v29, v31, v236, -v29
	v_mul_f16_sdwa v31, v31, v236 dst_sel:DWORD dst_unused:UNUSED_PAD src0_sel:DWORD src1_sel:WORD_1
	v_fma_f16 v31, v23, v236, v31
	v_addc_co_u32_e32 v23, vcc, 0, v24, vcc
	global_load_dword v246, v[22:23], off offset:472
	global_load_dword v247, v[22:23], off offset:984
	;; [unrolled: 1-line block ×5, first 2 shown]
	ds_read2st64_b32 v[25:26], v48 offset0:8 offset1:10
	v_pack_b32_f16 v30, v30, v28
	ds_read2st64_b32 v[22:23], v48 offset0:16 offset1:18
	v_pack_b32_f16 v0, v0, v35
	s_waitcnt lgkmcnt(1)
	v_sub_f16_e32 v32, v25, v29
	ds_read2st64_b32 v[28:29], v48 offset0:40 offset1:42
	v_lshrrev_b32_e32 v33, 16, v25
	v_sub_f16_e32 v24, v33, v31
	v_pack_b32_f16 v31, v32, v24
	ds_write2st64_b32 v48, v30, v31 offset0:36 offset1:38
	s_waitcnt lgkmcnt(1)
	v_lshrrev_b32_e32 v30, 16, v28
	s_waitcnt vmcnt(9)
	v_mul_f16_sdwa v31, v28, v243 dst_sel:DWORD dst_unused:UNUSED_PAD src0_sel:DWORD src1_sel:WORD_1
	v_fma_f16 v31, v30, v243, v31
	v_mul_f16_sdwa v30, v30, v243 dst_sel:DWORD dst_unused:UNUSED_PAD src0_sel:DWORD src1_sel:WORD_1
	v_fma_f16 v28, v28, v243, -v30
	v_lshrrev_b32_e32 v30, 16, v26
	v_fma_f16 v24, v33, 2.0, -v24
	v_fma_f16 v25, v25, 2.0, -v32
	v_sub_f16_e32 v28, v26, v28
	v_sub_f16_e32 v31, v30, v31
	v_fma_f16 v26, v26, 2.0, -v28
	v_pack_b32_f16 v24, v25, v24
	v_fma_f16 v25, v30, 2.0, -v31
	v_pack_b32_f16 v25, v26, v25
	ds_write2st64_b32 v48, v24, v25 offset0:8 offset1:10
	v_lshrrev_b32_e32 v26, 16, v29
	ds_read2st64_b32 v[24:25], v48 offset0:12 offset1:14
	s_waitcnt vmcnt(8)
	v_mul_f16_sdwa v30, v26, v242 dst_sel:DWORD dst_unused:UNUSED_PAD src0_sel:DWORD src1_sel:WORD_1
	v_fma_f16 v30, v29, v242, -v30
	v_mul_f16_sdwa v29, v29, v242 dst_sel:DWORD dst_unused:UNUSED_PAD src0_sel:DWORD src1_sel:WORD_1
	v_fma_f16 v26, v26, v242, v29
	v_pack_b32_f16 v31, v28, v31
	ds_read2st64_b32 v[28:29], v48 offset0:44 offset1:46
	s_waitcnt lgkmcnt(1)
	v_lshrrev_b32_e32 v32, 16, v24
	v_sub_f16_e32 v30, v24, v30
	v_sub_f16_e32 v26, v32, v26
	v_pack_b32_f16 v33, v30, v26
	ds_write2st64_b32 v48, v31, v33 offset0:40 offset1:42
	v_fma_f16 v26, v32, 2.0, -v26
	s_waitcnt lgkmcnt(1)
	v_lshrrev_b32_e32 v31, 16, v28
	s_waitcnt vmcnt(7)
	v_mul_f16_sdwa v32, v28, v241 dst_sel:DWORD dst_unused:UNUSED_PAD src0_sel:DWORD src1_sel:WORD_1
	v_fma_f16 v32, v31, v241, v32
	v_mul_f16_sdwa v31, v31, v241 dst_sel:DWORD dst_unused:UNUSED_PAD src0_sel:DWORD src1_sel:WORD_1
	v_fma_f16 v28, v28, v241, -v31
	v_fma_f16 v24, v24, 2.0, -v30
	v_lshrrev_b32_e32 v30, 16, v25
	v_sub_f16_e32 v28, v25, v28
	v_pack_b32_f16 v24, v24, v26
	v_sub_f16_e32 v26, v30, v32
	v_fma_f16 v25, v25, 2.0, -v28
	v_fma_f16 v30, v30, 2.0, -v26
	v_pack_b32_f16 v25, v25, v30
	ds_write2st64_b32 v48, v24, v25 offset0:12 offset1:14
	v_lshrrev_b32_e32 v24, 16, v29
	s_waitcnt vmcnt(6)
	v_mul_f16_sdwa v25, v24, v244 dst_sel:DWORD dst_unused:UNUSED_PAD src0_sel:DWORD src1_sel:WORD_1
	v_fma_f16 v25, v29, v244, -v25
	v_mul_f16_sdwa v29, v29, v244 dst_sel:DWORD dst_unused:UNUSED_PAD src0_sel:DWORD src1_sel:WORD_1
	v_fma_f16 v29, v24, v244, v29
	v_pack_b32_f16 v26, v28, v26
	v_sub_f16_e32 v28, v22, v25
	ds_read2st64_b32 v[24:25], v48 offset0:48 offset1:50
	v_lshrrev_b32_e32 v30, 16, v22
	v_sub_f16_e32 v29, v30, v29
	v_pack_b32_f16 v31, v28, v29
	ds_write2st64_b32 v48, v26, v31 offset0:44 offset1:46
	v_fma_f16 v26, v30, 2.0, -v29
	s_waitcnt lgkmcnt(1)
	v_lshrrev_b32_e32 v29, 16, v24
	s_waitcnt vmcnt(5)
	v_mul_f16_sdwa v30, v24, v245 dst_sel:DWORD dst_unused:UNUSED_PAD src0_sel:DWORD src1_sel:WORD_1
	v_fma_f16 v30, v29, v245, v30
	v_mul_f16_sdwa v29, v29, v245 dst_sel:DWORD dst_unused:UNUSED_PAD src0_sel:DWORD src1_sel:WORD_1
	v_fma_f16 v24, v24, v245, -v29
	v_fma_f16 v22, v22, 2.0, -v28
	v_lshrrev_b32_e32 v28, 16, v23
	v_sub_f16_e32 v24, v23, v24
	v_pack_b32_f16 v22, v22, v26
	v_sub_f16_e32 v26, v28, v30
	v_fma_f16 v23, v23, 2.0, -v24
	v_fma_f16 v28, v28, 2.0, -v26
	v_pack_b32_f16 v23, v23, v28
	ds_write2st64_b32 v48, v22, v23 offset0:16 offset1:18
	v_lshrrev_b32_e32 v28, 16, v25
	ds_read2st64_b32 v[22:23], v48 offset0:20 offset1:22
	s_waitcnt vmcnt(4)
	v_mul_f16_sdwa v29, v28, v246 dst_sel:DWORD dst_unused:UNUSED_PAD src0_sel:DWORD src1_sel:WORD_1
	v_fma_f16 v29, v25, v246, -v29
	v_mul_f16_sdwa v25, v25, v246 dst_sel:DWORD dst_unused:UNUSED_PAD src0_sel:DWORD src1_sel:WORD_1
	v_fma_f16 v28, v28, v246, v25
	v_pack_b32_f16 v26, v24, v26
	ds_read2st64_b32 v[24:25], v48 offset0:52 offset1:54
	s_waitcnt lgkmcnt(1)
	v_lshrrev_b32_e32 v30, 16, v22
	v_sub_f16_e32 v29, v22, v29
	v_sub_f16_e32 v28, v30, v28
	v_pack_b32_f16 v31, v29, v28
	ds_write2st64_b32 v48, v26, v31 offset0:48 offset1:50
	v_fma_f16 v26, v30, 2.0, -v28
	s_waitcnt lgkmcnt(1)
	v_lshrrev_b32_e32 v28, 16, v24
	s_waitcnt vmcnt(3)
	v_mul_f16_sdwa v30, v24, v247 dst_sel:DWORD dst_unused:UNUSED_PAD src0_sel:DWORD src1_sel:WORD_1
	v_fma_f16 v30, v28, v247, v30
	v_mul_f16_sdwa v28, v28, v247 dst_sel:DWORD dst_unused:UNUSED_PAD src0_sel:DWORD src1_sel:WORD_1
	v_fma_f16 v24, v24, v247, -v28
	v_fma_f16 v22, v22, 2.0, -v29
	v_lshrrev_b32_e32 v28, 16, v23
	v_sub_f16_e32 v24, v23, v24
	v_pack_b32_f16 v22, v22, v26
	v_sub_f16_e32 v26, v28, v30
	v_fma_f16 v23, v23, 2.0, -v24
	v_fma_f16 v28, v28, 2.0, -v26
	v_pack_b32_f16 v23, v23, v28
	ds_write2st64_b32 v48, v22, v23 offset0:20 offset1:22
	v_lshrrev_b32_e32 v28, 16, v25
	ds_read2st64_b32 v[22:23], v48 offset0:24 offset1:26
	s_waitcnt vmcnt(2)
	v_mul_f16_sdwa v29, v28, v248 dst_sel:DWORD dst_unused:UNUSED_PAD src0_sel:DWORD src1_sel:WORD_1
	v_fma_f16 v29, v25, v248, -v29
	v_mul_f16_sdwa v25, v25, v248 dst_sel:DWORD dst_unused:UNUSED_PAD src0_sel:DWORD src1_sel:WORD_1
	v_fma_f16 v28, v28, v248, v25
	v_pack_b32_f16 v26, v24, v26
	ds_read2st64_b32 v[24:25], v48 offset0:56 offset1:58
	s_waitcnt lgkmcnt(1)
	v_lshrrev_b32_e32 v30, 16, v22
	v_sub_f16_e32 v29, v22, v29
	v_sub_f16_e32 v28, v30, v28
	v_pack_b32_f16 v31, v29, v28
	ds_write2st64_b32 v48, v26, v31 offset0:52 offset1:54
	v_fma_f16 v26, v30, 2.0, -v28
	s_waitcnt lgkmcnt(1)
	v_lshrrev_b32_e32 v28, 16, v24
	s_waitcnt vmcnt(1)
	v_mul_f16_sdwa v30, v24, v249 dst_sel:DWORD dst_unused:UNUSED_PAD src0_sel:DWORD src1_sel:WORD_1
	v_fma_f16 v30, v28, v249, v30
	v_mul_f16_sdwa v28, v28, v249 dst_sel:DWORD dst_unused:UNUSED_PAD src0_sel:DWORD src1_sel:WORD_1
	v_fma_f16 v24, v24, v249, -v28
	v_fma_f16 v22, v22, 2.0, -v29
	v_lshrrev_b32_e32 v28, 16, v23
	v_sub_f16_e32 v24, v23, v24
	v_pack_b32_f16 v22, v22, v26
	v_sub_f16_e32 v26, v28, v30
	v_fma_f16 v23, v23, 2.0, -v24
	v_fma_f16 v28, v28, 2.0, -v26
	v_pack_b32_f16 v23, v23, v28
	ds_write2st64_b32 v48, v22, v23 offset0:24 offset1:26
	v_lshrrev_b32_e32 v22, 16, v25
	s_waitcnt vmcnt(0)
	v_mul_f16_sdwa v23, v22, v250 dst_sel:DWORD dst_unused:UNUSED_PAD src0_sel:DWORD src1_sel:WORD_1
	v_fma_f16 v23, v25, v250, -v23
	v_mul_f16_sdwa v25, v25, v250 dst_sel:DWORD dst_unused:UNUSED_PAD src0_sel:DWORD src1_sel:WORD_1
	v_fma_f16 v22, v22, v250, v25
	v_lshrrev_b32_e32 v25, 16, v27
	v_sub_f16_e32 v23, v27, v23
	v_sub_f16_e32 v22, v25, v22
	v_fma_f16 v27, v27, 2.0, -v23
	v_fma_f16 v25, v25, 2.0, -v22
	v_pack_b32_f16 v25, v27, v25
	ds_write2st64_b32 v48, v25, v0 offset0:28 offset1:30
	v_pack_b32_f16 v0, v24, v26
	v_pack_b32_f16 v22, v23, v22
	ds_write2st64_b32 v48, v0, v22 offset0:56 offset1:58
	s_waitcnt lgkmcnt(0)
	s_barrier
	global_load_dword v0, v48, s[6:7]
	global_load_dword v24, v48, s[6:7] offset:512
	global_load_dword v25, v48, s[6:7] offset:3072
	;; [unrolled: 1-line block ×3, first 2 shown]
	global_load_dword v27, v39, s[6:7]
	global_load_dword v28, v87, s[6:7]
	;; [unrolled: 1-line block ×6, first 2 shown]
	ds_read2st64_b32 v[22:23], v48 offset1:2
	global_load_dword v33, v48, s[6:7] offset:2560
	global_load_dword v34, v38, s[6:7]
	global_load_dword v35, v76, s[6:7]
	global_load_dword v37, v48, s[6:7] offset:1024
	s_nop 0
	global_load_dword v38, v48, s[6:7] offset:2048
	global_load_dword v39, v48, s[6:7] offset:1536
	s_waitcnt lgkmcnt(0)
	v_lshrrev_b32_e32 v36, 16, v22
	s_waitcnt vmcnt(15)
	v_mul_f16_sdwa v51, v22, v0 dst_sel:DWORD dst_unused:UNUSED_PAD src0_sel:DWORD src1_sel:WORD_1
	v_fma_f16 v51, v36, v0, v51
	v_mul_f16_sdwa v36, v36, v0 dst_sel:DWORD dst_unused:UNUSED_PAD src0_sel:DWORD src1_sel:WORD_1
	v_fma_f16 v0, v22, v0, -v36
	v_lshrrev_b32_e32 v36, 16, v23
	s_waitcnt vmcnt(14)
	v_mul_f16_sdwa v22, v36, v24 dst_sel:DWORD dst_unused:UNUSED_PAD src0_sel:DWORD src1_sel:WORD_1
	v_fma_f16 v76, v23, v24, -v22
	v_mul_f16_sdwa v77, v23, v24 dst_sel:DWORD dst_unused:UNUSED_PAD src0_sel:DWORD src1_sel:WORD_1
	ds_read2st64_b32 v[22:23], v48 offset0:12 offset1:14
	v_fma_f16 v24, v36, v24, v77
	v_pack_b32_f16 v0, v0, v51
	v_pack_b32_f16 v24, v76, v24
	ds_write2st64_b32 v48, v0, v24 offset1:2
	s_waitcnt lgkmcnt(1)
	v_lshrrev_b32_e32 v0, 16, v22
	s_waitcnt vmcnt(13)
	v_mul_f16_sdwa v24, v22, v25 dst_sel:DWORD dst_unused:UNUSED_PAD src0_sel:DWORD src1_sel:WORD_1
	v_fma_f16 v24, v0, v25, v24
	v_mul_f16_sdwa v0, v0, v25 dst_sel:DWORD dst_unused:UNUSED_PAD src0_sel:DWORD src1_sel:WORD_1
	v_fma_f16 v0, v22, v25, -v0
	v_lshrrev_b32_e32 v22, 16, v23
	s_waitcnt vmcnt(12)
	v_mul_f16_sdwa v25, v22, v26 dst_sel:DWORD dst_unused:UNUSED_PAD src0_sel:DWORD src1_sel:WORD_1
	v_fma_f16 v25, v23, v26, -v25
	v_mul_f16_sdwa v23, v23, v26 dst_sel:DWORD dst_unused:UNUSED_PAD src0_sel:DWORD src1_sel:WORD_1
	v_fma_f16 v26, v22, v26, v23
	v_pack_b32_f16 v0, v0, v24
	v_pack_b32_f16 v24, v25, v26
	ds_write2st64_b32 v48, v0, v24 offset0:12 offset1:14
	ds_read2st64_b32 v[22:23], v48 offset0:24 offset1:26
	global_load_dword v0, v41, s[6:7]
	global_load_dword v24, v75, s[6:7]
	;; [unrolled: 1-line block ×3, first 2 shown]
	s_nop 0
	global_load_dword v41, v85, s[6:7]
	global_load_dword v51, v86, s[6:7]
	s_waitcnt lgkmcnt(0)
	v_lshrrev_b32_e32 v25, 16, v22
	s_waitcnt vmcnt(16)
	v_mul_f16_sdwa v36, v22, v27 dst_sel:DWORD dst_unused:UNUSED_PAD src0_sel:DWORD src1_sel:WORD_1
	v_fma_f16 v36, v25, v27, v36
	v_mul_f16_sdwa v25, v25, v27 dst_sel:DWORD dst_unused:UNUSED_PAD src0_sel:DWORD src1_sel:WORD_1
	v_lshrrev_b32_e32 v75, 16, v23
	v_fma_f16 v25, v22, v27, -v25
	s_waitcnt vmcnt(15)
	v_mul_f16_sdwa v22, v75, v28 dst_sel:DWORD dst_unused:UNUSED_PAD src0_sel:DWORD src1_sel:WORD_1
	global_load_dword v27, v88, s[6:7]
	s_nop 0
	global_load_dword v74, v74, s[6:7]
	s_nop 0
	global_load_dword v40, v40, s[6:7]
	v_fma_f16 v76, v23, v28, -v22
	v_mul_f16_sdwa v77, v23, v28 dst_sel:DWORD dst_unused:UNUSED_PAD src0_sel:DWORD src1_sel:WORD_1
	ds_read2st64_b32 v[22:23], v48 offset0:36 offset1:38
	v_fma_f16 v28, v75, v28, v77
	v_pack_b32_f16 v25, v25, v36
	v_pack_b32_f16 v28, v76, v28
	ds_write2st64_b32 v48, v25, v28 offset0:24 offset1:26
	s_waitcnt lgkmcnt(1)
	v_lshrrev_b32_e32 v25, 16, v22
	s_waitcnt vmcnt(17)
	v_mul_f16_sdwa v28, v22, v29 dst_sel:DWORD dst_unused:UNUSED_PAD src0_sel:DWORD src1_sel:WORD_1
	v_fma_f16 v28, v25, v29, v28
	v_mul_f16_sdwa v25, v25, v29 dst_sel:DWORD dst_unused:UNUSED_PAD src0_sel:DWORD src1_sel:WORD_1
	v_fma_f16 v25, v22, v29, -v25
	v_lshrrev_b32_e32 v29, 16, v23
	s_waitcnt vmcnt(16)
	v_mul_f16_sdwa v22, v29, v30 dst_sel:DWORD dst_unused:UNUSED_PAD src0_sel:DWORD src1_sel:WORD_1
	v_fma_f16 v36, v23, v30, -v22
	v_mul_f16_sdwa v75, v23, v30 dst_sel:DWORD dst_unused:UNUSED_PAD src0_sel:DWORD src1_sel:WORD_1
	ds_read2st64_b32 v[22:23], v48 offset0:48 offset1:50
	v_fma_f16 v29, v29, v30, v75
	v_pack_b32_f16 v25, v25, v28
	v_pack_b32_f16 v28, v36, v29
	ds_write2st64_b32 v48, v25, v28 offset0:36 offset1:38
	s_waitcnt lgkmcnt(1)
	v_lshrrev_b32_e32 v25, 16, v22
	s_waitcnt vmcnt(15)
	v_mul_f16_sdwa v28, v22, v31 dst_sel:DWORD dst_unused:UNUSED_PAD src0_sel:DWORD src1_sel:WORD_1
	global_load_dword v29, v78, s[6:7]
	v_fma_f16 v28, v25, v31, v28
	v_mul_f16_sdwa v25, v25, v31 dst_sel:DWORD dst_unused:UNUSED_PAD src0_sel:DWORD src1_sel:WORD_1
	v_lshrrev_b32_e32 v30, 16, v23
	v_fma_f16 v25, v22, v31, -v25
	s_waitcnt vmcnt(15)
	v_mul_f16_sdwa v22, v30, v32 dst_sel:DWORD dst_unused:UNUSED_PAD src0_sel:DWORD src1_sel:WORD_1
	v_fma_f16 v31, v23, v32, -v22
	v_mul_f16_sdwa v36, v23, v32 dst_sel:DWORD dst_unused:UNUSED_PAD src0_sel:DWORD src1_sel:WORD_1
	ds_read2st64_b32 v[22:23], v48 offset0:4 offset1:6
	v_fma_f16 v30, v30, v32, v36
	v_pack_b32_f16 v25, v25, v28
	v_pack_b32_f16 v28, v31, v30
	ds_write2st64_b32 v48, v25, v28 offset0:48 offset1:50
	global_load_dword v28, v79, s[6:7]
	s_waitcnt lgkmcnt(1)
	v_lshrrev_b32_e32 v25, 16, v23
	s_waitcnt vmcnt(10)
	v_mul_f16_sdwa v30, v23, v39 dst_sel:DWORD dst_unused:UNUSED_PAD src0_sel:DWORD src1_sel:WORD_1
	v_fma_f16 v30, v25, v39, v30
	v_mul_f16_sdwa v25, v25, v39 dst_sel:DWORD dst_unused:UNUSED_PAD src0_sel:DWORD src1_sel:WORD_1
	v_fma_f16 v25, v23, v39, -v25
	v_lshrrev_b32_e32 v23, 16, v22
	v_mul_f16_sdwa v31, v23, v37 dst_sel:DWORD dst_unused:UNUSED_PAD src0_sel:DWORD src1_sel:WORD_1
	v_fma_f16 v31, v22, v37, -v31
	v_mul_f16_sdwa v22, v22, v37 dst_sel:DWORD dst_unused:UNUSED_PAD src0_sel:DWORD src1_sel:WORD_1
	v_fma_f16 v32, v23, v37, v22
	ds_read2st64_b32 v[22:23], v48 offset0:8 offset1:10
	v_pack_b32_f16 v25, v25, v30
	v_pack_b32_f16 v30, v31, v32
	ds_write2st64_b32 v48, v30, v25 offset0:4 offset1:6
	global_load_dword v25, v80, s[6:7]
	s_waitcnt lgkmcnt(1)
	v_lshrrev_b32_e32 v30, 16, v22
	v_mul_f16_sdwa v31, v22, v38 dst_sel:DWORD dst_unused:UNUSED_PAD src0_sel:DWORD src1_sel:WORD_1
	v_fma_f16 v31, v30, v38, v31
	v_mul_f16_sdwa v30, v30, v38 dst_sel:DWORD dst_unused:UNUSED_PAD src0_sel:DWORD src1_sel:WORD_1
	v_fma_f16 v30, v22, v38, -v30
	v_lshrrev_b32_e32 v22, 16, v23
	v_mul_f16_sdwa v32, v22, v33 dst_sel:DWORD dst_unused:UNUSED_PAD src0_sel:DWORD src1_sel:WORD_1
	v_fma_f16 v32, v23, v33, -v32
	v_mul_f16_sdwa v23, v23, v33 dst_sel:DWORD dst_unused:UNUSED_PAD src0_sel:DWORD src1_sel:WORD_1
	v_fma_f16 v33, v22, v33, v23
	v_pack_b32_f16 v30, v30, v31
	v_pack_b32_f16 v31, v32, v33
	global_load_dword v32, v81, s[6:7]
	ds_read2st64_b32 v[22:23], v48 offset0:16 offset1:18
	ds_write2st64_b32 v48, v30, v31 offset0:8 offset1:10
	s_waitcnt lgkmcnt(1)
	v_lshrrev_b32_e32 v30, 16, v23
	s_waitcnt vmcnt(9)
	v_mul_f16_sdwa v31, v23, v26 dst_sel:DWORD dst_unused:UNUSED_PAD src0_sel:DWORD src1_sel:WORD_1
	v_fma_f16 v31, v30, v26, v31
	v_mul_f16_sdwa v30, v30, v26 dst_sel:DWORD dst_unused:UNUSED_PAD src0_sel:DWORD src1_sel:WORD_1
	v_fma_f16 v26, v23, v26, -v30
	v_pack_b32_f16 v26, v26, v31
	global_load_dword v31, v83, s[6:7]
	v_lshrrev_b32_e32 v23, 16, v22
	s_waitcnt vmcnt(8)
	v_mul_f16_sdwa v30, v23, v51 dst_sel:DWORD dst_unused:UNUSED_PAD src0_sel:DWORD src1_sel:WORD_1
	v_fma_f16 v30, v22, v51, -v30
	v_mul_f16_sdwa v22, v22, v51 dst_sel:DWORD dst_unused:UNUSED_PAD src0_sel:DWORD src1_sel:WORD_1
	v_fma_f16 v33, v23, v51, v22
	v_pack_b32_f16 v30, v30, v33
	global_load_dword v33, v84, s[6:7]
	ds_read2st64_b32 v[22:23], v48 offset0:20 offset1:22
	ds_write2st64_b32 v48, v30, v26 offset0:16 offset1:18
	s_movk_i32 s6, 0x1ff
	s_movk_i32 s7, 0xffe
	s_waitcnt lgkmcnt(1)
	v_lshrrev_b32_e32 v26, 16, v22
	v_mul_f16_sdwa v30, v22, v24 dst_sel:DWORD dst_unused:UNUSED_PAD src0_sel:DWORD src1_sel:WORD_1
	v_fma_f16 v30, v26, v24, v30
	v_mul_f16_sdwa v26, v26, v24 dst_sel:DWORD dst_unused:UNUSED_PAD src0_sel:DWORD src1_sel:WORD_1
	v_fma_f16 v24, v22, v24, -v26
	v_lshrrev_b32_e32 v22, 16, v23
	s_waitcnt vmcnt(8)
	v_mul_f16_sdwa v26, v22, v27 dst_sel:DWORD dst_unused:UNUSED_PAD src0_sel:DWORD src1_sel:WORD_1
	v_fma_f16 v26, v23, v27, -v26
	v_mul_f16_sdwa v23, v23, v27 dst_sel:DWORD dst_unused:UNUSED_PAD src0_sel:DWORD src1_sel:WORD_1
	v_fma_f16 v27, v22, v27, v23
	ds_read2st64_b32 v[22:23], v48 offset0:28 offset1:30
	v_pack_b32_f16 v24, v24, v30
	v_pack_b32_f16 v26, v26, v27
	ds_write2st64_b32 v48, v24, v26 offset0:20 offset1:22
	s_waitcnt lgkmcnt(1)
	v_lshrrev_b32_e32 v24, 16, v23
	v_mul_f16_sdwa v26, v23, v34 dst_sel:DWORD dst_unused:UNUSED_PAD src0_sel:DWORD src1_sel:WORD_1
	v_fma_f16 v26, v24, v34, v26
	v_mul_f16_sdwa v24, v24, v34 dst_sel:DWORD dst_unused:UNUSED_PAD src0_sel:DWORD src1_sel:WORD_1
	v_lshrrev_b32_e32 v27, 16, v22
	v_fma_f16 v24, v23, v34, -v24
	s_waitcnt vmcnt(5)
	v_mul_f16_sdwa v23, v27, v29 dst_sel:DWORD dst_unused:UNUSED_PAD src0_sel:DWORD src1_sel:WORD_1
	v_fma_f16 v30, v22, v29, -v23
	v_mul_f16_sdwa v34, v22, v29 dst_sel:DWORD dst_unused:UNUSED_PAD src0_sel:DWORD src1_sel:WORD_1
	ds_read2st64_b32 v[22:23], v48 offset0:32 offset1:34
	v_fma_f16 v27, v27, v29, v34
	v_pack_b32_f16 v24, v24, v26
	v_pack_b32_f16 v26, v30, v27
	ds_write2st64_b32 v48, v26, v24 offset0:28 offset1:30
	s_waitcnt lgkmcnt(1)
	v_lshrrev_b32_e32 v24, 16, v22
	v_mul_f16_sdwa v26, v22, v40 dst_sel:DWORD dst_unused:UNUSED_PAD src0_sel:DWORD src1_sel:WORD_1
	v_fma_f16 v26, v24, v40, v26
	v_mul_f16_sdwa v24, v24, v40 dst_sel:DWORD dst_unused:UNUSED_PAD src0_sel:DWORD src1_sel:WORD_1
	v_lshrrev_b32_e32 v27, 16, v23
	v_fma_f16 v24, v22, v40, -v24
	s_waitcnt vmcnt(4)
	v_mul_f16_sdwa v22, v27, v28 dst_sel:DWORD dst_unused:UNUSED_PAD src0_sel:DWORD src1_sel:WORD_1
	v_fma_f16 v29, v23, v28, -v22
	v_mul_f16_sdwa v30, v23, v28 dst_sel:DWORD dst_unused:UNUSED_PAD src0_sel:DWORD src1_sel:WORD_1
	ds_read2st64_b32 v[22:23], v48 offset0:40 offset1:42
	v_fma_f16 v27, v27, v28, v30
	;; [unrolled: 16-line block ×4, first 2 shown]
	v_pack_b32_f16 v24, v24, v25
	v_pack_b32_f16 v25, v27, v26
	ds_write2st64_b32 v48, v24, v25 offset0:44 offset1:46
	s_waitcnt lgkmcnt(1)
	v_lshrrev_b32_e32 v24, 16, v23
	v_mul_f16_sdwa v25, v23, v0 dst_sel:DWORD dst_unused:UNUSED_PAD src0_sel:DWORD src1_sel:WORD_1
	v_fma_f16 v25, v24, v0, v25
	v_mul_f16_sdwa v24, v24, v0 dst_sel:DWORD dst_unused:UNUSED_PAD src0_sel:DWORD src1_sel:WORD_1
	v_fma_f16 v0, v23, v0, -v24
	v_lshrrev_b32_e32 v24, 16, v22
	s_waitcnt vmcnt(1)
	v_mul_f16_sdwa v23, v24, v31 dst_sel:DWORD dst_unused:UNUSED_PAD src0_sel:DWORD src1_sel:WORD_1
	v_fma_f16 v26, v22, v31, -v23
	v_mul_f16_sdwa v27, v22, v31 dst_sel:DWORD dst_unused:UNUSED_PAD src0_sel:DWORD src1_sel:WORD_1
	ds_read2st64_b32 v[22:23], v48 offset0:56 offset1:58
	v_fma_f16 v24, v24, v31, v27
	v_pack_b32_f16 v0, v0, v25
	v_pack_b32_f16 v24, v26, v24
	ds_write2st64_b32 v48, v24, v0 offset0:52 offset1:54
	s_waitcnt lgkmcnt(1)
	v_lshrrev_b32_e32 v0, 16, v22
	v_mul_f16_sdwa v24, v22, v41 dst_sel:DWORD dst_unused:UNUSED_PAD src0_sel:DWORD src1_sel:WORD_1
	v_fma_f16 v24, v0, v41, v24
	v_mul_f16_sdwa v0, v0, v41 dst_sel:DWORD dst_unused:UNUSED_PAD src0_sel:DWORD src1_sel:WORD_1
	v_fma_f16 v0, v22, v41, -v0
	v_lshrrev_b32_e32 v22, 16, v23
	s_waitcnt vmcnt(0)
	v_mul_f16_sdwa v25, v22, v33 dst_sel:DWORD dst_unused:UNUSED_PAD src0_sel:DWORD src1_sel:WORD_1
	v_fma_f16 v25, v23, v33, -v25
	v_mul_f16_sdwa v23, v23, v33 dst_sel:DWORD dst_unused:UNUSED_PAD src0_sel:DWORD src1_sel:WORD_1
	v_fma_f16 v22, v22, v33, v23
	v_pack_b32_f16 v0, v0, v24
	v_pack_b32_f16 v22, v25, v22
	ds_write2st64_b32 v48, v0, v22 offset0:56 offset1:58
	s_waitcnt lgkmcnt(0)
	s_barrier
	ds_read2st64_b32 v[32:33], v48 offset0:36 offset1:38
	ds_read2st64_b32 v[34:35], v48 offset0:48 offset1:50
	;; [unrolled: 1-line block ×4, first 2 shown]
	ds_read2st64_b32 v[36:37], v48 offset1:2
	ds_read2st64_b32 v[24:25], v48 offset0:40 offset1:42
	ds_read2st64_b32 v[26:27], v48 offset0:52 offset1:54
	;; [unrolled: 1-line block ×4, first 2 shown]
	s_waitcnt lgkmcnt(7)
	v_sub_f16_e32 v0, v32, v34
	s_waitcnt lgkmcnt(6)
	v_sub_f16_sdwa v75, v38, v34 dst_sel:DWORD dst_unused:UNUSED_PAD src0_sel:WORD_1 src1_sel:WORD_1
	s_waitcnt lgkmcnt(5)
	v_sub_f16_e32 v22, v40, v38
	v_add_f16_e32 v0, v22, v0
	v_add_f16_e32 v22, v38, v34
	s_waitcnt lgkmcnt(4)
	v_fma_f16 v22, v22, -0.5, v36
	v_sub_f16_sdwa v76, v40, v32 dst_sel:DWORD dst_unused:UNUSED_PAD src0_sel:WORD_1 src1_sel:WORD_1
	v_fma_f16 v23, v76, s12, v22
	v_fma_f16 v22, v76, s13, v22
	;; [unrolled: 1-line block ×6, first 2 shown]
	v_sub_f16_sdwa v0, v40, v38 dst_sel:DWORD dst_unused:UNUSED_PAD src0_sel:WORD_1 src1_sel:WORD_1
	v_sub_f16_sdwa v22, v32, v34 dst_sel:DWORD dst_unused:UNUSED_PAD src0_sel:WORD_1 src1_sel:WORD_1
	v_add_f16_e32 v0, v0, v22
	v_lshrrev_b32_e32 v51, 16, v36
	v_add_f16_sdwa v22, v38, v34 dst_sel:DWORD dst_unused:UNUSED_PAD src0_sel:WORD_1 src1_sel:WORD_1
	v_fma_f16 v22, v22, -0.5, v51
	v_sub_f16_e32 v251, v40, v32
	v_sub_f16_e32 v90, v38, v34
	v_fma_f16 v23, v251, s13, v22
	v_fma_f16 v22, v251, s12, v22
	v_fma_f16 v23, v90, s0, v23
	v_fma_f16 v22, v90, s14, v22
	v_fma_f16 v252, v0, s1, v23
	v_fma_f16 v0, v0, s1, v22
	ds_read2st64_b32 v[22:23], v48 offset0:4 offset1:6
	s_waitcnt lgkmcnt(3)
	v_sub_f16_e32 v78, v25, v27
	s_waitcnt lgkmcnt(1)
	v_sub_f16_e32 v79, v31, v29
	v_add_f16_e32 v78, v79, v78
	v_add_f16_e32 v79, v29, v27
	s_waitcnt lgkmcnt(0)
	v_fma_f16 v79, v79, -0.5, v23
	v_sub_f16_sdwa v254, v31, v25 dst_sel:DWORD dst_unused:UNUSED_PAD src0_sel:WORD_1 src1_sel:WORD_1
	v_sub_f16_sdwa v253, v29, v27 dst_sel:DWORD dst_unused:UNUSED_PAD src0_sel:WORD_1 src1_sel:WORD_1
	v_fma_f16 v80, v254, s12, v79
	v_fma_f16 v79, v254, s13, v79
	;; [unrolled: 1-line block ×6, first 2 shown]
	v_sub_f16_sdwa v79, v31, v29 dst_sel:DWORD dst_unused:UNUSED_PAD src0_sel:WORD_1 src1_sel:WORD_1
	v_sub_f16_sdwa v81, v25, v27 dst_sel:DWORD dst_unused:UNUSED_PAD src0_sel:WORD_1 src1_sel:WORD_1
	v_add_f16_e32 v79, v79, v81
	v_lshrrev_b32_e32 v81, 16, v23
	v_add_f16_sdwa v82, v29, v27 dst_sel:DWORD dst_unused:UNUSED_PAD src0_sel:WORD_1 src1_sel:WORD_1
	v_fma_f16 v82, v82, -0.5, v81
	v_sub_f16_e32 v21, v31, v25
	v_sub_f16_e32 v255, v29, v27
	v_fma_f16 v83, v21, s13, v82
	v_fma_f16 v83, v255, s0, v83
	;; [unrolled: 1-line block ×6, first 2 shown]
	v_mul_f16_e32 v82, 0xbb9c, v83
	v_fma_f16 v42, v80, s1, v82
	v_mul_f16_e32 v82, 0x34f2, v83
	v_fma_f16 v43, v80, s12, v82
	v_mul_f16_e32 v80, 0xbb9c, v79
	v_mul_f16_e32 v79, 0xb4f2, v79
	v_fma_f16 v44, v78, s2, v80
	v_fma_f16 v45, v78, s12, v79
	v_add_f16_e32 v78, v74, v44
	v_add_f16_e32 v79, v0, v45
	v_pack_b32_f16 v79, v78, v79
	v_add_f16_e32 v78, v77, v42
	v_add_f16_e32 v80, v252, v43
	v_pack_b32_f16 v78, v78, v80
	v_sub_f16_e32 v80, v34, v32
	v_sub_f16_e32 v82, v38, v40
	v_add_f16_e32 v46, v82, v80
	v_add_f16_sdwa v80, v40, v32 dst_sel:DWORD dst_unused:UNUSED_PAD src0_sel:WORD_1 src1_sel:WORD_1
	v_fma_f16 v51, v80, -0.5, v51
	v_sub_f16_sdwa v80, v38, v40 dst_sel:DWORD dst_unused:UNUSED_PAD src0_sel:WORD_1 src1_sel:WORD_1
	v_sub_f16_sdwa v82, v34, v32 dst_sel:DWORD dst_unused:UNUSED_PAD src0_sel:WORD_1 src1_sel:WORD_1
	v_add_f16_e32 v47, v80, v82
	v_sub_f16_e32 v80, v27, v25
	v_sub_f16_e32 v82, v29, v31
	v_add_f16_e32 v49, v82, v80
	v_add_f16_sdwa v80, v31, v25 dst_sel:DWORD dst_unused:UNUSED_PAD src0_sel:WORD_1 src1_sel:WORD_1
	v_fma_f16 v50, v80, -0.5, v81
	v_sub_f16_sdwa v80, v29, v31 dst_sel:DWORD dst_unused:UNUSED_PAD src0_sel:WORD_1 src1_sel:WORD_1
	v_sub_f16_sdwa v81, v27, v25 dst_sel:DWORD dst_unused:UNUSED_PAD src0_sel:WORD_1 src1_sel:WORD_1
	v_add_f16_e32 v52, v80, v81
	v_add_f16_e32 v80, v31, v25
	v_fma_f16 v53, v80, -0.5, v23
	v_fma_f16 v81, v255, s12, v50
	v_fma_f16 v80, v253, s13, v53
	;; [unrolled: 1-line block ×6, first 2 shown]
	v_mul_f16_e32 v82, 0xb8b4, v81
	v_fma_f16 v54, v80, s15, v82
	v_mul_f16_e32 v80, 0x38b4, v80
	v_fma_f16 v55, v81, s15, v80
	v_add_f16_e32 v80, v40, v32
	v_fma_f16 v56, v80, -0.5, v36
	v_pk_add_f16 v36, v36, v38
	v_pk_add_f16 v36, v36, v40
	;; [unrolled: 1-line block ×3, first 2 shown]
	v_fma_f16 v80, v75, s13, v56
	v_pk_add_f16 v34, v32, v34
	v_fma_f16 v32, v90, s12, v51
	v_pk_add_f16 v23, v23, v29
	v_fma_f16 v80, v76, s14, v80
	v_fma_f16 v32, v251, s0, v32
	v_pk_add_f16 v23, v23, v31
	v_fma_f16 v57, v46, s1, v80
	v_fma_f16 v36, v47, s1, v32
	v_pk_add_f16 v23, v23, v25
	v_pk_add_f16 v23, v23, v27
	v_add_f16_e32 v25, v57, v54
	v_add_f16_e32 v27, v36, v55
	v_pack_b32_f16 v32, v25, v27
	v_pk_add_f16 v31, v34, v23
	ds_read2st64_b32 v[80:81], v48 offset0:8 offset1:10
	ds_read2st64_b32 v[82:83], v48 offset0:20 offset1:22
	;; [unrolled: 1-line block ×5, first 2 shown]
	s_waitcnt lgkmcnt(0)
	s_barrier
	ds_write2_b64 v94, v[31:32], v[78:79] offset1:1
	v_sub_f16_e32 v25, v57, v54
	v_sub_f16_e32 v27, v77, v42
	;; [unrolled: 1-line block ×4, first 2 shown]
	v_fma_f16 v36, v255, s13, v50
	v_pack_b32_f16 v32, v27, v31
	v_pack_b32_f16 v31, v25, v29
	v_fma_f16 v29, v253, s12, v53
	v_fma_f16 v21, v21, s14, v36
	;; [unrolled: 1-line block ×9, first 2 shown]
	v_mul_f16_e32 v36, 0xb8b4, v21
	v_mul_f16_e32 v21, 0xba79, v21
	v_fma_f16 v25, v46, s1, v25
	v_fma_f16 v27, v47, s1, v27
	;; [unrolled: 1-line block ×4, first 2 shown]
	v_pk_add_f16 v76, v34, v23 neg_lo:[0,1] neg_hi:[0,1]
	v_add_f16_e32 v23, v25, v36
	v_add_f16_e32 v29, v27, v21
	v_pack_b32_f16 v75, v23, v29
	v_sub_f16_e32 v23, v74, v44
	v_sub_f16_e32 v25, v25, v36
	;; [unrolled: 1-line block ×4, first 2 shown]
	ds_write2_b64 v94, v[75:76], v[31:32] offset0:2 offset1:3
	v_pack_b32_f16 v32, v25, v21
	v_pack_b32_f16 v31, v23, v0
	v_pk_add_f16 v0, v37, v39
	ds_write_b64 v94, v[31:32] offset:32
	v_pk_add_f16 v0, v0, v41
	v_add_f16_e32 v32, v39, v35
	v_sub_f16_sdwa v23, v41, v33 dst_sel:DWORD dst_unused:UNUSED_PAD src0_sel:WORD_1 src1_sel:WORD_1
	v_pk_add_f16 v0, v0, v33
	v_fma_f16 v32, v32, -0.5, v37
	v_add_f16_e32 v21, v41, v33
	v_sub_f16_e32 v25, v39, v41
	v_sub_f16_e32 v27, v41, v39
	v_add_f16_sdwa v29, v41, v33 dst_sel:DWORD dst_unused:UNUSED_PAD src0_sel:WORD_1 src1_sel:WORD_1
	v_sub_f16_e32 v36, v41, v33
	v_sub_f16_sdwa v34, v39, v41 dst_sel:DWORD dst_unused:UNUSED_PAD src0_sel:WORD_1 src1_sel:WORD_1
	v_sub_f16_sdwa v31, v41, v39 dst_sel:DWORD dst_unused:UNUSED_PAD src0_sel:WORD_1 src1_sel:WORD_1
	;; [unrolled: 1-line block ×3, first 2 shown]
	v_sub_f16_e32 v40, v39, v35
	v_add_f16_sdwa v39, v39, v35 dst_sel:DWORD dst_unused:UNUSED_PAD src0_sel:WORD_1 src1_sel:WORD_1
	v_sub_f16_e32 v41, v35, v33
	v_sub_f16_e32 v42, v33, v35
	v_sub_f16_sdwa v43, v35, v33 dst_sel:DWORD dst_unused:UNUSED_PAD src0_sel:WORD_1 src1_sel:WORD_1
	v_sub_f16_sdwa v33, v33, v35 dst_sel:DWORD dst_unused:UNUSED_PAD src0_sel:WORD_1 src1_sel:WORD_1
	v_pk_add_f16 v0, v0, v35
	v_fma_f16 v35, v23, s12, v32
	v_fma_f16 v32, v23, s13, v32
	v_add_f16_e32 v27, v27, v42
	v_fma_f16 v35, v38, s14, v35
	v_fma_f16 v32, v38, s0, v32
	v_fma_f16 v21, v21, -0.5, v37
	v_lshrrev_b32_e32 v37, 16, v37
	v_fma_f16 v35, v27, s1, v35
	v_fma_f16 v27, v27, s1, v32
	v_fma_f16 v32, v39, -0.5, v37
	v_add_f16_e32 v31, v31, v33
	v_fma_f16 v33, v36, s13, v32
	v_fma_f16 v32, v36, s12, v32
	;; [unrolled: 1-line block ×6, first 2 shown]
	v_sub_f16_e32 v31, v86, v88
	v_sub_f16_e32 v32, v84, v82
	v_add_f16_e32 v31, v32, v31
	v_add_f16_e32 v32, v82, v88
	v_fma_f16 v32, v32, -0.5, v80
	v_sub_f16_sdwa v45, v84, v86 dst_sel:DWORD dst_unused:UNUSED_PAD src0_sel:WORD_1 src1_sel:WORD_1
	v_sub_f16_sdwa v44, v82, v88 dst_sel:DWORD dst_unused:UNUSED_PAD src0_sel:WORD_1 src1_sel:WORD_1
	v_fma_f16 v33, v45, s12, v32
	v_fma_f16 v32, v45, s13, v32
	;; [unrolled: 1-line block ×6, first 2 shown]
	v_sub_f16_sdwa v32, v84, v82 dst_sel:DWORD dst_unused:UNUSED_PAD src0_sel:WORD_1 src1_sel:WORD_1
	v_sub_f16_sdwa v46, v86, v88 dst_sel:DWORD dst_unused:UNUSED_PAD src0_sel:WORD_1 src1_sel:WORD_1
	v_add_f16_e32 v32, v32, v46
	v_lshrrev_b32_e32 v46, 16, v80
	v_add_f16_sdwa v47, v82, v88 dst_sel:DWORD dst_unused:UNUSED_PAD src0_sel:WORD_1 src1_sel:WORD_1
	v_fma_f16 v47, v47, -0.5, v46
	v_sub_f16_e32 v50, v84, v86
	v_sub_f16_e32 v49, v82, v88
	v_fma_f16 v51, v50, s13, v47
	v_fma_f16 v51, v49, s0, v51
	;; [unrolled: 1-line block ×6, first 2 shown]
	v_mul_f16_e32 v47, 0xbb9c, v51
	v_mul_f16_e32 v51, 0x34f2, v51
	v_fma_f16 v47, v33, s1, v47
	v_fma_f16 v51, v33, s12, v51
	v_mul_f16_e32 v33, 0xbb9c, v32
	v_mul_f16_e32 v32, 0xb4f2, v32
	v_fma_f16 v52, v31, s2, v33
	v_fma_f16 v53, v31, s12, v32
	v_add_f16_e32 v31, v27, v52
	v_add_f16_e32 v32, v42, v53
	v_pack_b32_f16 v32, v31, v32
	v_add_f16_e32 v31, v35, v47
	v_add_f16_e32 v33, v39, v51
	v_pack_b32_f16 v31, v31, v33
	v_fma_f16 v29, v29, -0.5, v37
	v_add_f16_e32 v37, v34, v43
	v_sub_f16_e32 v33, v88, v86
	v_sub_f16_e32 v34, v82, v84
	v_add_f16_e32 v25, v25, v41
	v_add_f16_e32 v41, v34, v33
	v_add_f16_sdwa v33, v84, v86 dst_sel:DWORD dst_unused:UNUSED_PAD src0_sel:WORD_1 src1_sel:WORD_1
	v_fma_f16 v43, v33, -0.5, v46
	v_sub_f16_sdwa v33, v82, v84 dst_sel:DWORD dst_unused:UNUSED_PAD src0_sel:WORD_1 src1_sel:WORD_1
	v_sub_f16_sdwa v34, v88, v86 dst_sel:DWORD dst_unused:UNUSED_PAD src0_sel:WORD_1 src1_sel:WORD_1
	v_add_f16_e32 v46, v33, v34
	v_add_f16_e32 v33, v84, v86
	v_fma_f16 v54, v33, -0.5, v80
	v_fma_f16 v34, v49, s12, v43
	v_fma_f16 v33, v44, s13, v54
	;; [unrolled: 1-line block ×6, first 2 shown]
	v_mul_f16_e32 v55, 0xb8b4, v34
	v_fma_f16 v55, v33, s15, v55
	v_mul_f16_e32 v33, 0x38b4, v33
	v_fma_f16 v56, v34, s15, v33
	v_fma_f16 v33, v38, s13, v21
	;; [unrolled: 1-line block ×7, first 2 shown]
	v_pk_add_f16 v33, v80, v82
	v_pk_add_f16 v33, v33, v84
	;; [unrolled: 1-line block ×3, first 2 shown]
	v_fma_f16 v21, v38, s12, v21
	v_pk_add_f16 v75, v33, v88
	v_add_f16_e32 v33, v57, v55
	v_add_f16_e32 v34, v74, v56
	v_fma_f16 v21, v23, s0, v21
	v_fma_f16 v23, v40, s13, v29
	v_fma_f16 v29, v49, s13, v43
	v_pack_b32_f16 v34, v33, v34
	v_pk_add_f16 v33, v0, v75
	v_fma_f16 v21, v25, s1, v21
	v_fma_f16 v25, v44, s12, v54
	;; [unrolled: 1-line block ×3, first 2 shown]
	ds_write2_b64 v102, v[33:34], v[31:32] offset1:1
	v_sub_f16_e32 v31, v57, v55
	v_sub_f16_e32 v33, v74, v56
	v_fma_f16 v25, v45, s0, v25
	v_fma_f16 v29, v46, s1, v29
	v_pack_b32_f16 v31, v31, v33
	v_fma_f16 v23, v36, s14, v23
	v_fma_f16 v25, v41, s1, v25
	v_mul_f16_e32 v33, 0xb8b4, v29
	v_mul_f16_e32 v29, 0xba79, v29
	v_sub_f16_e32 v32, v35, v47
	v_sub_f16_e32 v34, v39, v51
	v_fma_f16 v23, v37, s1, v23
	v_fma_f16 v35, v25, s3, v33
	;; [unrolled: 1-line block ×3, first 2 shown]
	v_pack_b32_f16 v32, v32, v34
	v_pk_add_f16 v34, v0, v75 neg_lo:[0,1] neg_hi:[0,1]
	v_add_f16_e32 v0, v21, v35
	v_add_f16_e32 v29, v23, v25
	v_pack_b32_f16 v33, v0, v29
	ds_write2_b64 v102, v[33:34], v[31:32] offset0:2 offset1:3
	v_sub_f16_e32 v0, v27, v52
	v_sub_f16_e32 v21, v21, v35
	;; [unrolled: 1-line block ×4, first 2 shown]
	v_add_f16_e32 v34, v28, v26
	v_pack_b32_f16 v32, v21, v23
	v_pack_b32_f16 v31, v0, v27
	v_sub_f16_sdwa v27, v30, v24 dst_sel:DWORD dst_unused:UNUSED_PAD src0_sel:WORD_1 src1_sel:WORD_1
	v_sub_f16_e32 v23, v30, v28
	v_sub_f16_e32 v37, v24, v26
	v_fma_f16 v34, v34, -0.5, v22
	v_pk_add_f16 v0, v22, v28
	v_sub_f16_sdwa v33, v28, v26 dst_sel:DWORD dst_unused:UNUSED_PAD src0_sel:WORD_1 src1_sel:WORD_1
	v_add_f16_e32 v23, v23, v37
	v_fma_f16 v37, v27, s12, v34
	v_fma_f16 v34, v27, s13, v34
	ds_write_b64 v102, v[31:32] offset:32
	v_pk_add_f16 v0, v0, v30
	v_add_f16_e32 v21, v30, v24
	v_sub_f16_e32 v25, v28, v30
	v_add_f16_sdwa v29, v30, v24 dst_sel:DWORD dst_unused:UNUSED_PAD src0_sel:WORD_1 src1_sel:WORD_1
	v_sub_f16_e32 v31, v30, v24
	v_sub_f16_sdwa v32, v28, v30 dst_sel:DWORD dst_unused:UNUSED_PAD src0_sel:WORD_1 src1_sel:WORD_1
	v_sub_f16_sdwa v30, v30, v28 dst_sel:DWORD dst_unused:UNUSED_PAD src0_sel:WORD_1 src1_sel:WORD_1
	v_sub_f16_e32 v35, v28, v26
	v_add_f16_sdwa v28, v28, v26 dst_sel:DWORD dst_unused:UNUSED_PAD src0_sel:WORD_1 src1_sel:WORD_1
	v_fma_f16 v37, v33, s14, v37
	v_fma_f16 v34, v33, s0, v34
	v_lshrrev_b32_e32 v56, 16, v22
	v_pk_add_f16 v0, v0, v24
	v_sub_f16_e32 v36, v26, v24
	v_sub_f16_sdwa v38, v26, v24 dst_sel:DWORD dst_unused:UNUSED_PAD src0_sel:WORD_1 src1_sel:WORD_1
	v_sub_f16_sdwa v24, v24, v26 dst_sel:DWORD dst_unused:UNUSED_PAD src0_sel:WORD_1 src1_sel:WORD_1
	v_fma_f16 v37, v23, s1, v37
	v_fma_f16 v34, v23, s1, v34
	v_fma_f16 v23, v28, -0.5, v56
	v_fma_f16 v21, v21, -0.5, v22
	v_add_f16_e32 v22, v30, v24
	v_fma_f16 v24, v31, s13, v23
	v_fma_f16 v23, v31, s12, v23
	v_add_f16_e32 v49, v83, v89
	v_fma_f16 v23, v35, s14, v23
	v_sub_f16_sdwa v40, v85, v87 dst_sel:DWORD dst_unused:UNUSED_PAD src0_sel:WORD_1 src1_sel:WORD_1
	v_fma_f16 v24, v35, s0, v24
	v_fma_f16 v30, v22, s1, v23
	v_fma_f16 v23, v49, -0.5, v81
	v_sub_f16_e32 v42, v85, v83
	v_sub_f16_sdwa v47, v83, v89 dst_sel:DWORD dst_unused:UNUSED_PAD src0_sel:WORD_1 src1_sel:WORD_1
	v_sub_f16_e32 v53, v87, v89
	v_fma_f16 v28, v22, s1, v24
	v_fma_f16 v24, v40, s12, v23
	;; [unrolled: 1-line block ×3, first 2 shown]
	v_sub_f16_sdwa v46, v85, v83 dst_sel:DWORD dst_unused:UNUSED_PAD src0_sel:WORD_1 src1_sel:WORD_1
	v_add_f16_sdwa v51, v83, v89 dst_sel:DWORD dst_unused:UNUSED_PAD src0_sel:WORD_1 src1_sel:WORD_1
	v_sub_f16_sdwa v55, v87, v89 dst_sel:DWORD dst_unused:UNUSED_PAD src0_sel:WORD_1 src1_sel:WORD_1
	v_add_f16_e32 v22, v42, v53
	v_fma_f16 v24, v47, s14, v24
	v_fma_f16 v23, v47, s0, v23
	v_lshrrev_b32_e32 v42, 16, v81
	v_sub_f16_e32 v44, v85, v87
	v_fma_f16 v24, v22, s1, v24
	v_fma_f16 v22, v22, s1, v23
	v_add_f16_e32 v23, v46, v55
	v_fma_f16 v46, v51, -0.5, v42
	v_sub_f16_e32 v50, v83, v89
	v_fma_f16 v49, v44, s13, v46
	v_fma_f16 v49, v50, s0, v49
	;; [unrolled: 1-line block ×6, first 2 shown]
	v_mul_f16_e32 v46, 0xbb9c, v49
	v_mul_f16_e32 v49, 0x34f2, v49
	v_fma_f16 v46, v24, s1, v46
	v_fma_f16 v49, v24, s12, v49
	v_mul_f16_e32 v24, 0xbb9c, v23
	v_mul_f16_e32 v23, 0xb4f2, v23
	v_sub_f16_e32 v41, v83, v85
	v_add_f16_sdwa v43, v85, v87 dst_sel:DWORD dst_unused:UNUSED_PAD src0_sel:WORD_1 src1_sel:WORD_1
	v_sub_f16_e32 v52, v89, v87
	v_fma_f16 v51, v22, s2, v24
	v_fma_f16 v53, v22, s12, v23
	v_add_f16_e32 v39, v85, v87
	v_add_f16_e32 v22, v34, v51
	;; [unrolled: 1-line block ×5, first 2 shown]
	v_fma_f16 v41, v43, -0.5, v42
	v_sub_f16_sdwa v45, v83, v85 dst_sel:DWORD dst_unused:UNUSED_PAD src0_sel:WORD_1 src1_sel:WORD_1
	v_sub_f16_sdwa v54, v89, v87 dst_sel:DWORD dst_unused:UNUSED_PAD src0_sel:WORD_1 src1_sel:WORD_1
	v_fma_f16 v39, v39, -0.5, v81
	v_pack_b32_f16 v23, v22, v23
	v_add_f16_e32 v22, v37, v46
	v_add_f16_e32 v24, v28, v49
	;; [unrolled: 1-line block ×3, first 2 shown]
	v_fma_f16 v25, v50, s12, v41
	v_pack_b32_f16 v22, v22, v24
	v_add_f16_e32 v42, v45, v54
	v_fma_f16 v24, v47, s13, v39
	v_fma_f16 v25, v44, s0, v25
	;; [unrolled: 1-line block ×5, first 2 shown]
	v_mul_f16_e32 v43, 0xb8b4, v25
	v_fma_f16 v43, v24, s15, v43
	v_mul_f16_e32 v24, 0x38b4, v24
	v_fma_f16 v45, v25, s15, v24
	v_fma_f16 v24, v33, s13, v21
	v_fma_f16 v29, v29, -0.5, v56
	v_fma_f16 v24, v27, s14, v24
	v_pk_add_f16 v0, v0, v26
	v_pk_add_f16 v26, v81, v83
	v_fma_f16 v52, v36, s1, v24
	v_fma_f16 v24, v35, s12, v29
	v_pk_add_f16 v26, v26, v85
	v_fma_f16 v24, v31, s0, v24
	v_pk_add_f16 v26, v26, v87
	;; [unrolled: 2-line block ×3, first 2 shown]
	v_add_f16_e32 v24, v52, v43
	v_add_f16_e32 v25, v54, v45
	v_pack_b32_f16 v25, v24, v25
	v_pk_add_f16 v24, v0, v26
	ds_write2_b64 v97, v[24:25], v[22:23] offset1:1
	v_sub_f16_e32 v22, v52, v43
	v_sub_f16_e32 v24, v54, v45
	;; [unrolled: 1-line block ×4, first 2 shown]
	v_pack_b32_f16 v22, v22, v24
	v_fma_f16 v24, v35, s13, v29
	v_pack_b32_f16 v23, v23, v25
	v_fma_f16 v21, v33, s12, v21
	v_fma_f16 v24, v31, s14, v24
	;; [unrolled: 1-line block ×10, first 2 shown]
	v_mul_f16_e32 v28, 0xb8b4, v25
	v_mul_f16_e32 v25, 0xba79, v25
	v_fma_f16 v21, v36, s1, v21
	v_fma_f16 v28, v24, s3, v28
	;; [unrolled: 1-line block ×3, first 2 shown]
	v_pk_add_f16 v25, v0, v26 neg_lo:[0,1] neg_hi:[0,1]
	v_add_f16_e32 v0, v21, v28
	v_add_f16_e32 v24, v27, v29
	v_pack_b32_f16 v24, v0, v24
	ds_write2_b64 v97, v[24:25], v[22:23] offset0:2 offset1:3
	v_sub_f16_e32 v0, v34, v51
	v_sub_f16_e32 v21, v21, v28
	;; [unrolled: 1-line block ×4, first 2 shown]
	v_pack_b32_f16 v23, v21, v23
	v_pack_b32_f16 v22, v0, v22
	ds_write_b64 v97, v[22:23] offset:32
	s_waitcnt lgkmcnt(0)
	s_barrier
	ds_read2st64_b32 v[22:23], v48 offset0:8 offset1:10
	ds_read2st64_b32 v[24:25], v48 offset0:20 offset1:22
	;; [unrolled: 1-line block ×3, first 2 shown]
	s_mov_b32 s2, 0x11111111
	s_mov_b32 s3, 0x3f311111
	s_waitcnt lgkmcnt(2)
	v_lshrrev_b32_e32 v0, 16, v23
	v_mul_f16_sdwa v21, v1, v23 dst_sel:DWORD dst_unused:UNUSED_PAD src0_sel:WORD_1 src1_sel:DWORD
	v_fma_f16 v21, v1, v0, -v21
	v_mul_f16_sdwa v0, v1, v0 dst_sel:DWORD dst_unused:UNUSED_PAD src0_sel:WORD_1 src1_sel:DWORD
	v_fma_f16 v0, v1, v23, v0
	s_waitcnt lgkmcnt(1)
	v_lshrrev_b32_e32 v1, 16, v24
	v_mul_f16_sdwa v23, v2, v24 dst_sel:DWORD dst_unused:UNUSED_PAD src0_sel:WORD_1 src1_sel:DWORD
	v_fma_f16 v23, v2, v1, -v23
	v_mul_f16_sdwa v1, v2, v1 dst_sel:DWORD dst_unused:UNUSED_PAD src0_sel:WORD_1 src1_sel:DWORD
	v_fma_f16 v24, v2, v24, v1
	ds_read2st64_b32 v[1:2], v48 offset0:40 offset1:42
	s_waitcnt lgkmcnt(1)
	v_lshrrev_b32_e32 v28, 16, v27
	v_mul_f16_sdwa v29, v3, v27 dst_sel:DWORD dst_unused:UNUSED_PAD src0_sel:WORD_1 src1_sel:DWORD
	v_fma_f16 v29, v3, v28, -v29
	v_mul_f16_sdwa v28, v3, v28 dst_sel:DWORD dst_unused:UNUSED_PAD src0_sel:WORD_1 src1_sel:DWORD
	v_fma_f16 v27, v3, v27, v28
	s_waitcnt lgkmcnt(0)
	v_lshrrev_b32_e32 v3, 16, v1
	v_mul_f16_sdwa v28, v4, v1 dst_sel:DWORD dst_unused:UNUSED_PAD src0_sel:WORD_1 src1_sel:DWORD
	v_fma_f16 v28, v4, v3, -v28
	v_mul_f16_sdwa v3, v4, v3 dst_sel:DWORD dst_unused:UNUSED_PAD src0_sel:WORD_1 src1_sel:DWORD
	v_fma_f16 v30, v4, v1, v3
	v_lshrrev_b32_e32 v1, 16, v25
	v_mul_f16_sdwa v3, v18, v1 dst_sel:DWORD dst_unused:UNUSED_PAD src0_sel:WORD_1 src1_sel:DWORD
	v_fma_f16 v31, v18, v25, v3
	v_mul_f16_sdwa v3, v18, v25 dst_sel:DWORD dst_unused:UNUSED_PAD src0_sel:WORD_1 src1_sel:DWORD
	v_fma_f16 v18, v18, v1, -v3
	v_lshrrev_b32_e32 v1, 16, v2
	ds_read2st64_b32 v[3:4], v48 offset0:12 offset1:14
	v_mul_f16_sdwa v25, v20, v1 dst_sel:DWORD dst_unused:UNUSED_PAD src0_sel:WORD_1 src1_sel:DWORD
	v_fma_f16 v25, v20, v2, v25
	v_mul_f16_sdwa v2, v20, v2 dst_sel:DWORD dst_unused:UNUSED_PAD src0_sel:WORD_1 src1_sel:DWORD
	v_fma_f16 v20, v20, v1, -v2
	ds_read2st64_b32 v[1:2], v48 offset0:32 offset1:34
	s_waitcnt lgkmcnt(1)
	v_lshrrev_b32_e32 v32, 16, v3
	v_mul_f16_sdwa v33, v17, v3 dst_sel:DWORD dst_unused:UNUSED_PAD src0_sel:WORD_1 src1_sel:DWORD
	v_fma_f16 v33, v17, v32, -v33
	v_mul_f16_sdwa v32, v17, v32 dst_sel:DWORD dst_unused:UNUSED_PAD src0_sel:WORD_1 src1_sel:DWORD
	v_fma_f16 v17, v17, v3, v32
	s_waitcnt lgkmcnt(0)
	v_lshrrev_b32_e32 v3, 16, v1
	v_mul_f16_sdwa v32, v19, v1 dst_sel:DWORD dst_unused:UNUSED_PAD src0_sel:WORD_1 src1_sel:DWORD
	v_fma_f16 v32, v19, v3, -v32
	v_mul_f16_sdwa v3, v19, v3 dst_sel:DWORD dst_unused:UNUSED_PAD src0_sel:WORD_1 src1_sel:DWORD
	v_fma_f16 v19, v19, v1, v3
	v_lshrrev_b32_e32 v1, 16, v4
	v_mul_f16_sdwa v3, v13, v1 dst_sel:DWORD dst_unused:UNUSED_PAD src0_sel:WORD_1 src1_sel:DWORD
	v_fma_f16 v34, v13, v4, v3
	v_mul_f16_sdwa v3, v13, v4 dst_sel:DWORD dst_unused:UNUSED_PAD src0_sel:WORD_1 src1_sel:DWORD
	v_fma_f16 v35, v13, v1, -v3
	v_lshrrev_b32_e32 v1, 16, v2
	ds_read2st64_b32 v[3:4], v48 offset0:24 offset1:26
	v_mul_f16_sdwa v13, v15, v1 dst_sel:DWORD dst_unused:UNUSED_PAD src0_sel:WORD_1 src1_sel:DWORD
	v_fma_f16 v36, v15, v2, v13
	v_mul_f16_sdwa v2, v15, v2 dst_sel:DWORD dst_unused:UNUSED_PAD src0_sel:WORD_1 src1_sel:DWORD
	v_fma_f16 v15, v15, v1, -v2
	;; [unrolled: 24-line block ×3, first 2 shown]
	ds_read2st64_b32 v[12:13], v48 offset0:36 offset1:38
	s_waitcnt lgkmcnt(1)
	v_lshrrev_b32_e32 v1, 16, v3
	v_mul_f16_sdwa v2, v9, v3 dst_sel:DWORD dst_unused:UNUSED_PAD src0_sel:WORD_1 src1_sel:DWORD
	v_fma_f16 v44, v9, v1, -v2
	v_mul_f16_sdwa v1, v9, v1 dst_sel:DWORD dst_unused:UNUSED_PAD src0_sel:WORD_1 src1_sel:DWORD
	v_fma_f16 v45, v9, v3, v1
	s_waitcnt lgkmcnt(0)
	v_lshrrev_b32_e32 v1, 16, v12
	v_mul_f16_sdwa v2, v11, v12 dst_sel:DWORD dst_unused:UNUSED_PAD src0_sel:WORD_1 src1_sel:DWORD
	v_fma_f16 v46, v11, v1, -v2
	v_mul_f16_sdwa v1, v11, v1 dst_sel:DWORD dst_unused:UNUSED_PAD src0_sel:WORD_1 src1_sel:DWORD
	v_lshrrev_b32_e32 v2, 16, v4
	v_fma_f16 v47, v11, v12, v1
	v_mul_f16_sdwa v1, v5, v2 dst_sel:DWORD dst_unused:UNUSED_PAD src0_sel:WORD_1 src1_sel:DWORD
	ds_read2st64_b32 v[9:10], v48 offset0:48 offset1:50
	v_fma_f16 v1, v5, v4, v1
	v_mul_f16_sdwa v3, v5, v4 dst_sel:DWORD dst_unused:UNUSED_PAD src0_sel:WORD_1 src1_sel:DWORD
	v_lshrrev_b32_e32 v4, 16, v26
	v_fma_f16 v2, v5, v2, -v3
	v_mul_f16_sdwa v3, v6, v4 dst_sel:DWORD dst_unused:UNUSED_PAD src0_sel:WORD_1 src1_sel:DWORD
	v_mul_f16_sdwa v5, v6, v26 dst_sel:DWORD dst_unused:UNUSED_PAD src0_sel:WORD_1 src1_sel:DWORD
	v_fma_f16 v3, v6, v26, v3
	v_fma_f16 v5, v6, v4, -v5
	v_lshrrev_b32_e32 v6, 16, v13
	v_mul_f16_sdwa v4, v7, v6 dst_sel:DWORD dst_unused:UNUSED_PAD src0_sel:WORD_1 src1_sel:DWORD
	v_mul_f16_sdwa v11, v7, v13 dst_sel:DWORD dst_unused:UNUSED_PAD src0_sel:WORD_1 src1_sel:DWORD
	v_fma_f16 v4, v7, v13, v4
	v_fma_f16 v6, v7, v6, -v11
	s_waitcnt lgkmcnt(0)
	v_lshrrev_b32_e32 v7, 16, v9
	v_mul_f16_sdwa v11, v8, v9 dst_sel:DWORD dst_unused:UNUSED_PAD src0_sel:WORD_1 src1_sel:DWORD
	v_fma_f16 v26, v8, v7, -v11
	v_mul_f16_sdwa v7, v8, v7 dst_sel:DWORD dst_unused:UNUSED_PAD src0_sel:WORD_1 src1_sel:DWORD
	v_fma_f16 v49, v8, v9, v7
	ds_read2st64_b32 v[7:8], v48 offset1:2
	v_lshrrev_b32_e32 v9, 16, v10
	v_mul_f16_sdwa v11, v92, v9 dst_sel:DWORD dst_unused:UNUSED_PAD src0_sel:WORD_1 src1_sel:DWORD
	v_fma_f16 v11, v92, v10, v11
	v_mul_f16_sdwa v10, v92, v10 dst_sel:DWORD dst_unused:UNUSED_PAD src0_sel:WORD_1 src1_sel:DWORD
	v_fma_f16 v9, v92, v9, -v10
	s_waitcnt lgkmcnt(0)
	v_lshrrev_b32_e32 v10, 16, v7
	v_add_f16_e32 v12, v10, v23
	v_add_f16_e32 v50, v12, v28
	v_add_f16_e32 v12, v23, v28
	v_sub_f16_e32 v51, v23, v28
	v_fma_f16 v23, v12, -0.5, v10
	v_add_f16_e32 v10, v7, v24
	v_add_f16_e32 v12, v21, v29
	v_add_f16_e32 v28, v10, v30
	v_add_f16_e32 v10, v24, v30
	v_sub_f16_e32 v24, v24, v30
	v_add_f16_e32 v30, v12, v9
	v_sub_f16_e32 v52, v29, v9
	v_add_f16_e32 v9, v29, v9
	v_fma_f16 v21, v9, -0.5, v21
	v_add_f16_e32 v9, v27, v11
	v_fma_f16 v29, v9, -0.5, v0
	v_add_f16_e32 v0, v0, v27
	v_sub_f16_e32 v27, v27, v11
	v_add_f16_e32 v0, v0, v11
	v_fma_f16 v11, v27, s16, v21
	v_fma_f16 v21, v27, s17, v21
	;; [unrolled: 1-line block ×3, first 2 shown]
	v_mul_f16_e32 v12, 0xbaee, v11
	v_mul_f16_e32 v11, 0.5, v11
	v_fma_f16 v7, v10, -0.5, v7
	v_fma_f16 v57, v24, s16, v23
	v_fma_f16 v23, v24, s17, v23
	;; [unrolled: 1-line block ×3, first 2 shown]
	v_mul_f16_e32 v27, 0xbaee, v21
	v_mul_f16_e32 v21, -0.5, v21
	v_fma_f16 v53, v9, 0.5, v12
	v_fma_f16 v54, v9, s16, v11
	v_add_f16_e32 v9, v28, v0
	v_add_f16_e32 v11, v50, v30
	v_fma_f16 v56, v51, s17, v7
	v_fma_f16 v7, v51, s16, v7
	v_fma_f16 v27, v24, -0.5, v27
	v_fma_f16 v21, v24, s16, v21
	v_pack_b32_f16 v55, v9, v11
	v_add_f16_e32 v9, v56, v53
	v_add_f16_e32 v10, v57, v54
	v_sub_f16_e32 v0, v28, v0
	v_sub_f16_e32 v24, v50, v30
	v_add_f16_e32 v28, v7, v27
	v_add_f16_e32 v29, v23, v21
	v_pack_b32_f16 v74, v9, v10
	ds_read2st64_b32 v[9:10], v48 offset0:52 offset1:54
	ds_read2st64_b32 v[11:12], v48 offset0:4 offset1:6
	;; [unrolled: 1-line block ×3, first 2 shown]
	v_pack_b32_f16 v28, v28, v29
	v_pack_b32_f16 v0, v0, v24
	s_waitcnt lgkmcnt(0)
	s_barrier
	ds_write2_b32 v98, v28, v0 offset0:20 offset1:30
	v_sub_f16_e32 v0, v56, v53
	v_sub_f16_e32 v7, v7, v27
	;; [unrolled: 1-line block ×4, first 2 shown]
	v_pack_b32_f16 v0, v0, v24
	v_pack_b32_f16 v7, v7, v21
	ds_write2_b32 v98, v0, v7 offset0:40 offset1:50
	v_lshrrev_b32_e32 v0, 16, v9
	v_mul_f16_sdwa v7, v96, v9 dst_sel:DWORD dst_unused:UNUSED_PAD src0_sel:WORD_1 src1_sel:DWORD
	v_fma_f16 v7, v96, v0, -v7
	v_mul_f16_sdwa v0, v96, v0 dst_sel:DWORD dst_unused:UNUSED_PAD src0_sel:WORD_1 src1_sel:DWORD
	v_lshrrev_b32_e32 v21, 16, v8
	v_fma_f16 v0, v96, v9, v0
	v_add_f16_e32 v9, v31, v25
	v_add_f16_e32 v23, v21, v18
	v_sub_f16_e32 v24, v18, v20
	v_add_f16_e32 v18, v18, v20
	v_fma_f16 v9, v9, -0.5, v8
	v_add_f16_e32 v8, v8, v31
	v_fma_f16 v18, v18, -0.5, v21
	v_add_f16_e32 v21, v33, v32
	v_add_f16_e32 v27, v19, v0
	;; [unrolled: 1-line block ×4, first 2 shown]
	v_sub_f16_e32 v20, v31, v25
	v_add_f16_e32 v21, v21, v7
	v_sub_f16_e32 v25, v32, v7
	v_add_f16_e32 v7, v32, v7
	v_fma_f16 v27, v27, -0.5, v17
	v_add_f16_e32 v17, v17, v19
	v_fma_f16 v7, v7, -0.5, v33
	v_add_f16_e32 v17, v17, v0
	v_sub_f16_e32 v0, v19, v0
	v_fma_f16 v28, v0, s16, v7
	v_fma_f16 v19, v25, s17, v27
	v_mul_f16_e32 v29, 0xbaee, v28
	v_mul_f16_e32 v28, 0.5, v28
	v_fma_f16 v0, v0, s17, v7
	v_fma_f16 v29, v19, 0.5, v29
	v_fma_f16 v19, v19, s16, v28
	v_add_f16_e32 v28, v8, v17
	v_add_f16_e32 v30, v23, v21
	v_fma_f16 v31, v20, s16, v18
	v_fma_f16 v18, v20, s17, v18
	;; [unrolled: 1-line block ×3, first 2 shown]
	v_mul_f16_e32 v7, 0xbaee, v0
	v_mul_f16_e32 v0, -0.5, v0
	v_pack_b32_f16 v28, v28, v30
	v_fma_f16 v30, v24, s17, v9
	v_fma_f16 v9, v24, s16, v9
	v_fma_f16 v7, v20, -0.5, v7
	v_fma_f16 v0, v20, s16, v0
	v_sub_f16_e32 v8, v8, v17
	v_sub_f16_e32 v17, v23, v21
	v_add_f16_e32 v20, v9, v7
	v_add_f16_e32 v21, v18, v0
	v_pack_b32_f16 v20, v20, v21
	v_pack_b32_f16 v8, v8, v17
	ds_write2_b32 v98, v55, v74 offset1:10
	ds_write2_b32 v99, v20, v8 offset0:20 offset1:30
	v_sub_f16_e32 v8, v30, v29
	v_sub_f16_e32 v7, v9, v7
	;; [unrolled: 1-line block ×4, first 2 shown]
	v_pack_b32_f16 v8, v8, v9
	v_pack_b32_f16 v0, v7, v0
	ds_write2_b32 v99, v8, v0 offset0:40 offset1:50
	v_lshrrev_b32_e32 v0, 16, v10
	v_mul_f16_sdwa v8, v95, v10 dst_sel:DWORD dst_unused:UNUSED_PAD src0_sel:WORD_1 src1_sel:DWORD
	v_add_f16_e32 v33, v31, v19
	v_mul_f16_sdwa v7, v95, v0 dst_sel:DWORD dst_unused:UNUSED_PAD src0_sel:WORD_1 src1_sel:DWORD
	v_fma_f16 v0, v95, v0, -v8
	v_add_f16_e32 v19, v35, v15
	v_fma_f16 v7, v95, v10, v7
	v_add_f16_e32 v19, v19, v0
	v_sub_f16_e32 v20, v15, v0
	v_add_f16_e32 v0, v15, v0
	v_add_f16_e32 v21, v34, v36
	v_lshrrev_b32_e32 v8, 16, v11
	v_add_f16_e32 v17, v37, v39
	v_fma_f16 v0, v0, -0.5, v35
	v_add_f16_e32 v15, v36, v7
	v_add_f16_e32 v21, v21, v7
	v_sub_f16_e32 v7, v36, v7
	v_add_f16_e32 v9, v8, v37
	v_fma_f16 v8, v17, -0.5, v8
	v_add_f16_e32 v17, v11, v38
	v_add_f16_e32 v18, v38, v16
	v_fma_f16 v15, v15, -0.5, v34
	v_fma_f16 v24, v7, s16, v0
	v_add_f16_e32 v9, v9, v39
	v_sub_f16_e32 v10, v37, v39
	v_add_f16_e32 v17, v17, v16
	v_fma_f16 v23, v20, s17, v15
	v_mul_f16_e32 v25, 0xbaee, v24
	v_mul_f16_e32 v24, 0.5, v24
	v_fma_f16 v11, v18, -0.5, v11
	v_fma_f16 v0, v7, s17, v0
	v_sub_f16_e32 v16, v38, v16
	v_fma_f16 v25, v23, 0.5, v25
	v_fma_f16 v23, v23, s16, v24
	v_add_f16_e32 v24, v17, v21
	v_add_f16_e32 v27, v9, v19
	v_fma_f16 v18, v10, s17, v11
	v_fma_f16 v10, v10, s16, v11
	;; [unrolled: 1-line block ×3, first 2 shown]
	v_mul_f16_e32 v7, 0xbaee, v0
	v_mul_f16_e32 v0, -0.5, v0
	v_pack_b32_f16 v24, v24, v27
	v_fma_f16 v27, v16, s16, v8
	v_fma_f16 v8, v16, s17, v8
	v_fma_f16 v7, v11, -0.5, v7
	v_fma_f16 v0, v11, s16, v0
	v_add_f16_e32 v32, v30, v29
	v_sub_f16_e32 v11, v17, v21
	v_sub_f16_e32 v9, v9, v19
	v_add_f16_e32 v15, v10, v7
	v_add_f16_e32 v16, v8, v0
	v_pack_b32_f16 v32, v32, v33
	v_pack_b32_f16 v15, v15, v16
	;; [unrolled: 1-line block ×3, first 2 shown]
	ds_write2_b32 v99, v28, v32 offset1:10
	ds_write2_b32 v100, v15, v9 offset0:20 offset1:30
	v_sub_f16_e32 v9, v18, v25
	v_sub_f16_e32 v7, v10, v7
	;; [unrolled: 1-line block ×4, first 2 shown]
	v_pack_b32_f16 v8, v9, v10
	v_pack_b32_f16 v0, v7, v0
	ds_write2_b32 v100, v8, v0 offset0:40 offset1:50
	v_lshrrev_b32_e32 v0, 16, v13
	v_mul_f16_sdwa v7, v93, v13 dst_sel:DWORD dst_unused:UNUSED_PAD src0_sel:WORD_1 src1_sel:DWORD
	v_fma_f16 v7, v93, v0, -v7
	v_mul_f16_sdwa v0, v93, v0 dst_sel:DWORD dst_unused:UNUSED_PAD src0_sel:WORD_1 src1_sel:DWORD
	v_add_f16_e32 v15, v44, v46
	v_add_f16_e32 v28, v18, v25
	v_fma_f16 v0, v93, v13, v0
	v_add_f16_e32 v15, v15, v7
	v_sub_f16_e32 v16, v46, v7
	v_add_f16_e32 v7, v46, v7
	v_add_f16_e32 v18, v45, v47
	v_lshrrev_b32_e32 v9, 16, v12
	v_fma_f16 v7, v7, -0.5, v44
	v_add_f16_e32 v17, v47, v0
	v_add_f16_e32 v18, v18, v0
	v_sub_f16_e32 v0, v47, v0
	v_add_f16_e32 v10, v12, v40
	v_add_f16_e32 v11, v9, v41
	v_fma_f16 v17, v17, -0.5, v45
	v_fma_f16 v20, v0, s16, v7
	v_add_f16_e32 v8, v40, v42
	v_add_f16_e32 v11, v11, v43
	;; [unrolled: 1-line block ×3, first 2 shown]
	v_fma_f16 v19, v16, s17, v17
	v_mul_f16_e32 v21, 0xbaee, v20
	v_mul_f16_e32 v20, 0.5, v20
	v_add_f16_e32 v29, v27, v23
	v_fma_f16 v8, v8, -0.5, v12
	v_sub_f16_e32 v12, v41, v43
	v_add_f16_e32 v13, v41, v43
	v_fma_f16 v21, v19, 0.5, v21
	v_fma_f16 v19, v19, s16, v20
	v_add_f16_e32 v20, v10, v18
	v_add_f16_e32 v23, v11, v15
	v_fma_f16 v0, v0, s17, v7
	v_pack_b32_f16 v28, v28, v29
	v_fma_f16 v9, v13, -0.5, v9
	v_sub_f16_e32 v13, v40, v42
	v_pack_b32_f16 v20, v20, v23
	v_fma_f16 v23, v12, s17, v8
	v_fma_f16 v8, v12, s16, v8
	;; [unrolled: 1-line block ×3, first 2 shown]
	v_mul_f16_e32 v7, 0xbaee, v0
	v_mul_f16_e32 v0, -0.5, v0
	ds_write2_b32 v100, v24, v28 offset1:10
	v_fma_f16 v24, v13, s16, v9
	v_fma_f16 v9, v13, s17, v9
	v_fma_f16 v7, v12, -0.5, v7
	v_fma_f16 v0, v12, s16, v0
	v_sub_f16_e32 v10, v10, v18
	v_sub_f16_e32 v11, v11, v15
	v_add_f16_e32 v12, v8, v7
	v_add_f16_e32 v13, v9, v0
	v_pack_b32_f16 v12, v12, v13
	v_pack_b32_f16 v10, v10, v11
	ds_write2_b32 v101, v12, v10 offset0:20 offset1:30
	v_sub_f16_e32 v10, v23, v21
	v_sub_f16_e32 v7, v8, v7
	;; [unrolled: 1-line block ×4, first 2 shown]
	v_pack_b32_f16 v8, v10, v8
	v_pack_b32_f16 v0, v7, v0
	v_lshrrev_b32_e32 v9, 16, v22
	ds_write2_b32 v101, v8, v0 offset0:40 offset1:50
	v_lshrrev_b32_e32 v0, 16, v14
	v_mul_f16_sdwa v8, v91, v14 dst_sel:DWORD dst_unused:UNUSED_PAD src0_sel:WORD_1 src1_sel:DWORD
	v_add_f16_e32 v10, v22, v3
	v_add_f16_e32 v11, v9, v5
	v_sub_f16_e32 v12, v5, v26
	v_add_f16_e32 v5, v5, v26
	v_mul_f16_sdwa v7, v91, v0 dst_sel:DWORD dst_unused:UNUSED_PAD src0_sel:WORD_1 src1_sel:DWORD
	v_fma_f16 v0, v91, v0, -v8
	v_fma_f16 v5, v5, -0.5, v9
	v_add_f16_e32 v9, v10, v49
	v_add_f16_e32 v10, v2, v6
	v_fma_f16 v7, v91, v14, v7
	v_add_f16_e32 v10, v10, v0
	v_sub_f16_e32 v13, v6, v0
	v_add_f16_e32 v0, v6, v0
	v_fma_f16 v0, v0, -0.5, v2
	v_add_f16_e32 v2, v4, v7
	v_fma_f16 v2, v2, -0.5, v1
	v_add_f16_e32 v1, v1, v4
	v_sub_f16_e32 v4, v4, v7
	v_add_f16_e32 v1, v1, v7
	v_fma_f16 v7, v4, s16, v0
	v_add_f16_e32 v8, v3, v49
	v_add_f16_e32 v11, v11, v26
	v_fma_f16 v6, v13, s17, v2
	v_mul_f16_e32 v14, 0xbaee, v7
	v_mul_f16_e32 v7, 0.5, v7
	v_fma_f16 v8, v8, -0.5, v22
	v_sub_f16_e32 v3, v3, v49
	v_fma_f16 v14, v6, 0.5, v14
	v_fma_f16 v6, v6, s16, v7
	v_add_f16_e32 v7, v9, v1
	v_add_f16_e32 v15, v11, v10
	v_pack_b32_f16 v7, v7, v15
	v_fma_f16 v15, v12, s17, v8
	v_fma_f16 v16, v3, s16, v5
	v_add_f16_e32 v25, v23, v21
	v_add_f16_e32 v27, v24, v19
	;; [unrolled: 1-line block ×4, first 2 shown]
	v_fma_f16 v0, v4, s17, v0
	v_pack_b32_f16 v25, v25, v27
	v_pack_b32_f16 v17, v17, v18
	v_fma_f16 v2, v13, s16, v2
	v_mul_f16_e32 v4, 0xbaee, v0
	v_mul_f16_e32 v0, -0.5, v0
	ds_write2_b32 v101, v20, v25 offset1:10
	ds_write2_b32 v104, v7, v17 offset1:10
	v_fma_f16 v7, v12, s16, v8
	v_fma_f16 v3, v3, s17, v5
	v_fma_f16 v4, v2, -0.5, v4
	v_fma_f16 v0, v2, s16, v0
	v_sub_f16_e32 v1, v9, v1
	v_sub_f16_e32 v2, v11, v10
	v_add_f16_e32 v5, v7, v4
	v_add_f16_e32 v8, v3, v0
	v_pack_b32_f16 v5, v5, v8
	v_pack_b32_f16 v1, v1, v2
	ds_write2_b32 v104, v5, v1 offset0:20 offset1:30
	v_sub_f16_e32 v1, v15, v14
	v_sub_f16_e32 v2, v7, v4
	;; [unrolled: 1-line block ×4, first 2 shown]
	v_pack_b32_f16 v1, v1, v4
	v_pack_b32_f16 v0, v2, v0
	ds_write2_b32 v104, v1, v0 offset0:40 offset1:50
	s_waitcnt lgkmcnt(0)
	s_barrier
	ds_read2st64_b32 v[1:2], v48 offset0:28 offset1:30
	ds_read2st64_b32 v[3:4], v48 offset1:2
	s_waitcnt lgkmcnt(1)
	v_lshrrev_b32_e32 v0, 16, v2
	v_mul_f16_sdwa v5, v105, v2 dst_sel:DWORD dst_unused:UNUSED_PAD src0_sel:WORD_1 src1_sel:DWORD
	v_fma_f16 v5, v105, v0, -v5
	v_mul_f16_sdwa v0, v105, v0 dst_sel:DWORD dst_unused:UNUSED_PAD src0_sel:WORD_1 src1_sel:DWORD
	v_fma_f16 v0, v105, v2, v0
	s_waitcnt lgkmcnt(0)
	v_lshrrev_b32_e32 v2, 16, v3
	v_sub_f16_e32 v0, v3, v0
	v_sub_f16_e32 v5, v2, v5
	v_fma_f16 v2, v2, 2.0, -v5
	v_fma_f16 v3, v3, 2.0, -v0
	v_pack_b32_f16 v21, v3, v2
	v_pack_b32_f16 v0, v0, v5
	ds_read2st64_b32 v[2:3], v48 offset0:32 offset1:34
	ds_read2st64_b32 v[5:6], v48 offset0:4 offset1:6
	;; [unrolled: 1-line block ×13, first 2 shown]
	s_waitcnt lgkmcnt(0)
	s_barrier
	ds_write2_b32 v103, v21, v0 offset1:60
	v_lshrrev_b32_e32 v0, 16, v2
	v_mul_f16_sdwa v21, v116, v2 dst_sel:DWORD dst_unused:UNUSED_PAD src0_sel:WORD_1 src1_sel:DWORD
	v_fma_f16 v21, v116, v0, -v21
	v_mul_f16_sdwa v0, v116, v0 dst_sel:DWORD dst_unused:UNUSED_PAD src0_sel:WORD_1 src1_sel:DWORD
	v_fma_f16 v0, v116, v2, v0
	v_lshrrev_b32_e32 v2, 16, v4
	v_sub_f16_e32 v0, v4, v0
	v_sub_f16_e32 v21, v2, v21
	v_fma_f16 v4, v4, 2.0, -v0
	v_fma_f16 v2, v2, 2.0, -v21
	v_pack_b32_f16 v2, v4, v2
	v_pack_b32_f16 v0, v0, v21
	ds_write2_b32 v120, v2, v0 offset1:60
	v_lshrrev_b32_e32 v0, 16, v3
	v_mul_f16_sdwa v2, v114, v0 dst_sel:DWORD dst_unused:UNUSED_PAD src0_sel:WORD_1 src1_sel:DWORD
	v_fma_f16 v2, v114, v3, v2
	v_mul_f16_sdwa v3, v114, v3 dst_sel:DWORD dst_unused:UNUSED_PAD src0_sel:WORD_1 src1_sel:DWORD
	v_fma_f16 v0, v114, v0, -v3
	v_lshrrev_b32_e32 v3, 16, v5
	v_sub_f16_e32 v2, v5, v2
	v_sub_f16_e32 v0, v3, v0
	v_fma_f16 v3, v3, 2.0, -v0
	v_fma_f16 v4, v5, 2.0, -v2
	v_pack_b32_f16 v3, v4, v3
	v_pack_b32_f16 v0, v2, v0
	ds_write2_b32 v121, v3, v0 offset1:60
	v_lshrrev_b32_e32 v0, 16, v7
	v_mul_f16_sdwa v2, v112, v7 dst_sel:DWORD dst_unused:UNUSED_PAD src0_sel:WORD_1 src1_sel:DWORD
	v_fma_f16 v2, v112, v0, -v2
	v_mul_f16_sdwa v0, v112, v0 dst_sel:DWORD dst_unused:UNUSED_PAD src0_sel:WORD_1 src1_sel:DWORD
	v_fma_f16 v0, v112, v7, v0
	v_lshrrev_b32_e32 v3, 16, v6
	v_sub_f16_e32 v0, v6, v0
	v_sub_f16_e32 v2, v3, v2
	v_fma_f16 v4, v6, 2.0, -v0
	v_fma_f16 v3, v3, 2.0, -v2
	v_pack_b32_f16 v3, v4, v3
	v_pack_b32_f16 v0, v0, v2
	ds_write2_b32 v122, v3, v0 offset1:60
	v_lshrrev_b32_e32 v0, 16, v8
	v_mul_f16_sdwa v2, v110, v0 dst_sel:DWORD dst_unused:UNUSED_PAD src0_sel:WORD_1 src1_sel:DWORD
	v_mul_f16_sdwa v3, v110, v8 dst_sel:DWORD dst_unused:UNUSED_PAD src0_sel:WORD_1 src1_sel:DWORD
	v_fma_f16 v2, v110, v8, v2
	v_fma_f16 v0, v110, v0, -v3
	v_lshrrev_b32_e32 v3, 16, v9
	v_sub_f16_e32 v2, v9, v2
	v_sub_f16_e32 v0, v3, v0
	v_fma_f16 v3, v3, 2.0, -v0
	v_fma_f16 v4, v9, 2.0, -v2
	v_pack_b32_f16 v3, v4, v3
	v_pack_b32_f16 v0, v2, v0
	ds_write2_b32 v123, v3, v0 offset1:60
	v_lshrrev_b32_e32 v0, 16, v11
	v_mul_f16_sdwa v2, v108, v11 dst_sel:DWORD dst_unused:UNUSED_PAD src0_sel:WORD_1 src1_sel:DWORD
	v_fma_f16 v2, v108, v0, -v2
	v_mul_f16_sdwa v0, v108, v0 dst_sel:DWORD dst_unused:UNUSED_PAD src0_sel:WORD_1 src1_sel:DWORD
	v_fma_f16 v0, v108, v11, v0
	v_lshrrev_b32_e32 v3, 16, v10
	v_sub_f16_e32 v0, v10, v0
	v_sub_f16_e32 v2, v3, v2
	v_fma_f16 v4, v10, 2.0, -v0
	v_fma_f16 v3, v3, 2.0, -v2
	v_pack_b32_f16 v3, v4, v3
	v_pack_b32_f16 v0, v0, v2
	ds_write2_b32 v124, v3, v0 offset1:60
	v_lshrrev_b32_e32 v0, 16, v12
	v_mul_f16_sdwa v2, v107, v0 dst_sel:DWORD dst_unused:UNUSED_PAD src0_sel:WORD_1 src1_sel:DWORD
	v_mul_f16_sdwa v3, v107, v12 dst_sel:DWORD dst_unused:UNUSED_PAD src0_sel:WORD_1 src1_sel:DWORD
	v_fma_f16 v2, v107, v12, v2
	;; [unrolled: 26-line block ×6, first 2 shown]
	v_fma_f16 v0, v109, v0, -v3
	v_lshrrev_b32_e32 v3, 16, v1
	v_sub_f16_e32 v2, v1, v2
	v_sub_f16_e32 v0, v3, v0
	v_fma_f16 v1, v1, 2.0, -v2
	v_fma_f16 v3, v3, 2.0, -v0
	v_pack_b32_f16 v1, v1, v3
	v_pack_b32_f16 v0, v2, v0
	ds_write2_b32 v133, v1, v0 offset1:60
	s_waitcnt lgkmcnt(0)
	s_barrier
	ds_read2st64_b32 v[1:2], v48 offset0:28 offset1:30
	ds_read2st64_b32 v[3:4], v48 offset1:2
	s_waitcnt lgkmcnt(1)
	v_lshrrev_b32_e32 v0, 16, v2
	v_mul_f16_sdwa v5, v151, v2 dst_sel:DWORD dst_unused:UNUSED_PAD src0_sel:WORD_1 src1_sel:DWORD
	v_fma_f16 v5, v151, v0, -v5
	v_mul_f16_sdwa v0, v151, v0 dst_sel:DWORD dst_unused:UNUSED_PAD src0_sel:WORD_1 src1_sel:DWORD
	v_fma_f16 v0, v151, v2, v0
	s_waitcnt lgkmcnt(0)
	v_lshrrev_b32_e32 v2, 16, v3
	v_sub_f16_e32 v0, v3, v0
	v_sub_f16_e32 v5, v2, v5
	v_fma_f16 v2, v2, 2.0, -v5
	v_fma_f16 v3, v3, 2.0, -v0
	v_pack_b32_f16 v21, v3, v2
	v_pack_b32_f16 v0, v0, v5
	ds_read2st64_b32 v[2:3], v48 offset0:32 offset1:34
	ds_read2st64_b32 v[5:6], v48 offset0:4 offset1:6
	;; [unrolled: 1-line block ×13, first 2 shown]
	s_waitcnt lgkmcnt(0)
	s_barrier
	ds_write2_b32 v138, v21, v0 offset1:120
	v_lshrrev_b32_e32 v0, 16, v2
	v_mul_f16_sdwa v21, v142, v2 dst_sel:DWORD dst_unused:UNUSED_PAD src0_sel:WORD_1 src1_sel:DWORD
	v_fma_f16 v21, v142, v0, -v21
	v_mul_f16_sdwa v0, v142, v0 dst_sel:DWORD dst_unused:UNUSED_PAD src0_sel:WORD_1 src1_sel:DWORD
	v_fma_f16 v0, v142, v2, v0
	v_lshrrev_b32_e32 v2, 16, v4
	v_sub_f16_e32 v0, v4, v0
	v_sub_f16_e32 v21, v2, v21
	v_fma_f16 v4, v4, 2.0, -v0
	v_fma_f16 v2, v2, 2.0, -v21
	v_pack_b32_f16 v2, v4, v2
	v_pack_b32_f16 v0, v0, v21
	ds_write2_b32 v156, v2, v0 offset1:120
	v_lshrrev_b32_e32 v0, 16, v3
	v_mul_f16_sdwa v2, v148, v0 dst_sel:DWORD dst_unused:UNUSED_PAD src0_sel:WORD_1 src1_sel:DWORD
	v_fma_f16 v2, v148, v3, v2
	v_mul_f16_sdwa v3, v148, v3 dst_sel:DWORD dst_unused:UNUSED_PAD src0_sel:WORD_1 src1_sel:DWORD
	v_fma_f16 v0, v148, v0, -v3
	v_lshrrev_b32_e32 v3, 16, v5
	v_sub_f16_e32 v2, v5, v2
	v_sub_f16_e32 v0, v3, v0
	v_fma_f16 v3, v3, 2.0, -v0
	v_fma_f16 v4, v5, 2.0, -v2
	v_pack_b32_f16 v3, v4, v3
	v_pack_b32_f16 v0, v2, v0
	ds_write2_b32 v158, v3, v0 offset1:120
	v_lshrrev_b32_e32 v0, 16, v7
	v_mul_f16_sdwa v2, v146, v7 dst_sel:DWORD dst_unused:UNUSED_PAD src0_sel:WORD_1 src1_sel:DWORD
	v_fma_f16 v2, v146, v0, -v2
	v_mul_f16_sdwa v0, v146, v0 dst_sel:DWORD dst_unused:UNUSED_PAD src0_sel:WORD_1 src1_sel:DWORD
	v_fma_f16 v0, v146, v7, v0
	v_lshrrev_b32_e32 v3, 16, v6
	v_sub_f16_e32 v0, v6, v0
	v_sub_f16_e32 v2, v3, v2
	v_fma_f16 v4, v6, 2.0, -v0
	v_fma_f16 v3, v3, 2.0, -v2
	v_pack_b32_f16 v3, v4, v3
	v_pack_b32_f16 v0, v0, v2
	ds_write2_b32 v159, v3, v0 offset1:120
	v_lshrrev_b32_e32 v0, 16, v8
	v_mul_f16_sdwa v2, v144, v0 dst_sel:DWORD dst_unused:UNUSED_PAD src0_sel:WORD_1 src1_sel:DWORD
	v_mul_f16_sdwa v3, v144, v8 dst_sel:DWORD dst_unused:UNUSED_PAD src0_sel:WORD_1 src1_sel:DWORD
	v_fma_f16 v2, v144, v8, v2
	v_fma_f16 v0, v144, v0, -v3
	v_lshrrev_b32_e32 v3, 16, v9
	v_sub_f16_e32 v2, v9, v2
	v_sub_f16_e32 v0, v3, v0
	v_fma_f16 v3, v3, 2.0, -v0
	v_fma_f16 v4, v9, 2.0, -v2
	v_pack_b32_f16 v3, v4, v3
	v_pack_b32_f16 v0, v2, v0
	ds_write2_b32 v160, v3, v0 offset1:120
	v_lshrrev_b32_e32 v0, 16, v11
	v_mul_f16_sdwa v2, v141, v11 dst_sel:DWORD dst_unused:UNUSED_PAD src0_sel:WORD_1 src1_sel:DWORD
	v_fma_f16 v2, v141, v0, -v2
	v_mul_f16_sdwa v0, v141, v0 dst_sel:DWORD dst_unused:UNUSED_PAD src0_sel:WORD_1 src1_sel:DWORD
	v_fma_f16 v0, v141, v11, v0
	v_lshrrev_b32_e32 v3, 16, v10
	v_sub_f16_e32 v0, v10, v0
	v_sub_f16_e32 v2, v3, v2
	v_fma_f16 v4, v10, 2.0, -v0
	v_fma_f16 v3, v3, 2.0, -v2
	v_pack_b32_f16 v3, v4, v3
	v_pack_b32_f16 v0, v0, v2
	ds_write2_b32 v161, v3, v0 offset1:120
	v_lshrrev_b32_e32 v0, 16, v12
	v_mul_f16_sdwa v2, v139, v0 dst_sel:DWORD dst_unused:UNUSED_PAD src0_sel:WORD_1 src1_sel:DWORD
	v_mul_f16_sdwa v3, v139, v12 dst_sel:DWORD dst_unused:UNUSED_PAD src0_sel:WORD_1 src1_sel:DWORD
	v_fma_f16 v2, v139, v12, v2
	v_fma_f16 v0, v139, v0, -v3
	v_lshrrev_b32_e32 v3, 16, v13
	v_sub_f16_e32 v2, v13, v2
	v_sub_f16_e32 v0, v3, v0
	v_fma_f16 v3, v3, 2.0, -v0
	v_fma_f16 v4, v13, 2.0, -v2
	v_pack_b32_f16 v3, v4, v3
	v_pack_b32_f16 v0, v2, v0
	ds_write2_b32 v162, v3, v0 offset1:120
	v_lshrrev_b32_e32 v0, 16, v15
	v_mul_f16_sdwa v2, v135, v15 dst_sel:DWORD dst_unused:UNUSED_PAD src0_sel:WORD_1 src1_sel:DWORD
	v_fma_f16 v2, v135, v0, -v2
	v_mul_f16_sdwa v0, v135, v0 dst_sel:DWORD dst_unused:UNUSED_PAD src0_sel:WORD_1 src1_sel:DWORD
	v_fma_f16 v0, v135, v15, v0
	v_lshrrev_b32_e32 v3, 16, v14
	v_sub_f16_e32 v0, v14, v0
	v_sub_f16_e32 v2, v3, v2
	v_fma_f16 v4, v14, 2.0, -v0
	v_fma_f16 v3, v3, 2.0, -v2
	v_pack_b32_f16 v3, v4, v3
	v_pack_b32_f16 v0, v0, v2
	ds_write2_b32 v163, v3, v0 offset1:120
	v_lshrrev_b32_e32 v0, 16, v16
	v_mul_f16_sdwa v2, v150, v0 dst_sel:DWORD dst_unused:UNUSED_PAD src0_sel:WORD_1 src1_sel:DWORD
	v_mul_f16_sdwa v3, v150, v16 dst_sel:DWORD dst_unused:UNUSED_PAD src0_sel:WORD_1 src1_sel:DWORD
	v_fma_f16 v2, v150, v16, v2
	v_fma_f16 v0, v150, v0, -v3
	v_lshrrev_b32_e32 v3, 16, v17
	v_sub_f16_e32 v2, v17, v2
	v_sub_f16_e32 v0, v3, v0
	v_fma_f16 v3, v3, 2.0, -v0
	v_fma_f16 v4, v17, 2.0, -v2
	v_pack_b32_f16 v3, v4, v3
	v_pack_b32_f16 v0, v2, v0
	ds_write2_b32 v164, v3, v0 offset1:120
	v_lshrrev_b32_e32 v0, 16, v19
	v_mul_f16_sdwa v2, v149, v19 dst_sel:DWORD dst_unused:UNUSED_PAD src0_sel:WORD_1 src1_sel:DWORD
	v_fma_f16 v2, v149, v0, -v2
	v_mul_f16_sdwa v0, v149, v0 dst_sel:DWORD dst_unused:UNUSED_PAD src0_sel:WORD_1 src1_sel:DWORD
	v_fma_f16 v0, v149, v19, v0
	v_lshrrev_b32_e32 v3, 16, v18
	v_sub_f16_e32 v0, v18, v0
	v_sub_f16_e32 v2, v3, v2
	v_fma_f16 v4, v18, 2.0, -v0
	v_fma_f16 v3, v3, 2.0, -v2
	v_pack_b32_f16 v3, v4, v3
	v_pack_b32_f16 v0, v0, v2
	ds_write2_b32 v167, v3, v0 offset1:120
	v_lshrrev_b32_e32 v0, 16, v20
	v_mul_f16_sdwa v2, v147, v0 dst_sel:DWORD dst_unused:UNUSED_PAD src0_sel:WORD_1 src1_sel:DWORD
	v_mul_f16_sdwa v3, v147, v20 dst_sel:DWORD dst_unused:UNUSED_PAD src0_sel:WORD_1 src1_sel:DWORD
	v_fma_f16 v2, v147, v20, v2
	v_fma_f16 v0, v147, v0, -v3
	v_lshrrev_b32_e32 v3, 16, v22
	v_sub_f16_e32 v2, v22, v2
	v_sub_f16_e32 v0, v3, v0
	v_fma_f16 v3, v3, 2.0, -v0
	v_fma_f16 v4, v22, 2.0, -v2
	v_pack_b32_f16 v3, v4, v3
	v_pack_b32_f16 v0, v2, v0
	ds_write2_b32 v168, v3, v0 offset1:120
	v_lshrrev_b32_e32 v0, 16, v24
	v_mul_f16_sdwa v2, v145, v24 dst_sel:DWORD dst_unused:UNUSED_PAD src0_sel:WORD_1 src1_sel:DWORD
	v_fma_f16 v2, v145, v0, -v2
	v_mul_f16_sdwa v0, v145, v0 dst_sel:DWORD dst_unused:UNUSED_PAD src0_sel:WORD_1 src1_sel:DWORD
	v_fma_f16 v0, v145, v24, v0
	v_lshrrev_b32_e32 v3, 16, v23
	v_sub_f16_e32 v0, v23, v0
	v_sub_f16_e32 v2, v3, v2
	v_fma_f16 v4, v23, 2.0, -v0
	v_fma_f16 v3, v3, 2.0, -v2
	v_pack_b32_f16 v3, v4, v3
	v_pack_b32_f16 v0, v0, v2
	ds_write2_b32 v169, v3, v0 offset1:120
	v_lshrrev_b32_e32 v0, 16, v25
	v_mul_f16_sdwa v2, v143, v0 dst_sel:DWORD dst_unused:UNUSED_PAD src0_sel:WORD_1 src1_sel:DWORD
	v_mul_f16_sdwa v3, v143, v25 dst_sel:DWORD dst_unused:UNUSED_PAD src0_sel:WORD_1 src1_sel:DWORD
	v_fma_f16 v2, v143, v25, v2
	v_fma_f16 v0, v143, v0, -v3
	v_lshrrev_b32_e32 v3, 16, v26
	v_sub_f16_e32 v2, v26, v2
	v_sub_f16_e32 v0, v3, v0
	v_fma_f16 v3, v3, 2.0, -v0
	v_fma_f16 v4, v26, 2.0, -v2
	v_pack_b32_f16 v3, v4, v3
	v_pack_b32_f16 v0, v2, v0
	ds_write2_b32 v170, v3, v0 offset1:120
	v_lshrrev_b32_e32 v0, 16, v28
	v_mul_f16_sdwa v2, v140, v28 dst_sel:DWORD dst_unused:UNUSED_PAD src0_sel:WORD_1 src1_sel:DWORD
	v_fma_f16 v2, v140, v0, -v2
	v_mul_f16_sdwa v0, v140, v0 dst_sel:DWORD dst_unused:UNUSED_PAD src0_sel:WORD_1 src1_sel:DWORD
	v_fma_f16 v0, v140, v28, v0
	v_lshrrev_b32_e32 v3, 16, v27
	v_sub_f16_e32 v0, v27, v0
	v_sub_f16_e32 v2, v3, v2
	v_fma_f16 v4, v27, 2.0, -v0
	v_fma_f16 v3, v3, 2.0, -v2
	v_pack_b32_f16 v3, v4, v3
	v_pack_b32_f16 v0, v0, v2
	ds_write2_b32 v171, v3, v0 offset1:120
	v_lshrrev_b32_e32 v0, 16, v29
	v_mul_f16_sdwa v2, v136, v0 dst_sel:DWORD dst_unused:UNUSED_PAD src0_sel:WORD_1 src1_sel:DWORD
	v_mul_f16_sdwa v3, v136, v29 dst_sel:DWORD dst_unused:UNUSED_PAD src0_sel:WORD_1 src1_sel:DWORD
	v_fma_f16 v2, v136, v29, v2
	v_fma_f16 v0, v136, v0, -v3
	v_lshrrev_b32_e32 v3, 16, v1
	v_sub_f16_e32 v2, v1, v2
	v_sub_f16_e32 v0, v3, v0
	v_fma_f16 v1, v1, 2.0, -v2
	v_fma_f16 v3, v3, 2.0, -v0
	v_pack_b32_f16 v1, v1, v3
	v_pack_b32_f16 v0, v2, v0
	ds_write2_b32 v172, v1, v0 offset1:120
	s_waitcnt lgkmcnt(0)
	s_barrier
	ds_read2st64_b32 v[1:2], v48 offset0:28 offset1:30
	ds_read2st64_b32 v[3:4], v48 offset1:2
	s_waitcnt lgkmcnt(1)
	v_lshrrev_b32_e32 v0, 16, v2
	v_mul_f16_sdwa v5, v183, v2 dst_sel:DWORD dst_unused:UNUSED_PAD src0_sel:WORD_1 src1_sel:DWORD
	v_fma_f16 v5, v183, v0, -v5
	v_mul_f16_sdwa v0, v183, v0 dst_sel:DWORD dst_unused:UNUSED_PAD src0_sel:WORD_1 src1_sel:DWORD
	v_fma_f16 v0, v183, v2, v0
	s_waitcnt lgkmcnt(0)
	v_lshrrev_b32_e32 v2, 16, v3
	v_sub_f16_e32 v0, v3, v0
	v_sub_f16_e32 v5, v2, v5
	v_fma_f16 v2, v2, 2.0, -v5
	v_fma_f16 v3, v3, 2.0, -v0
	v_pack_b32_f16 v21, v3, v2
	v_pack_b32_f16 v0, v0, v5
	ds_read2st64_b32 v[2:3], v48 offset0:32 offset1:34
	ds_read2st64_b32 v[5:6], v48 offset0:4 offset1:6
	;; [unrolled: 1-line block ×13, first 2 shown]
	s_waitcnt lgkmcnt(0)
	s_barrier
	ds_write2_b32 v48, v21, v0 offset1:240
	v_lshrrev_b32_e32 v0, 16, v2
	v_mul_f16_sdwa v21, v166, v2 dst_sel:DWORD dst_unused:UNUSED_PAD src0_sel:WORD_1 src1_sel:DWORD
	v_fma_f16 v21, v166, v0, -v21
	v_mul_f16_sdwa v0, v166, v0 dst_sel:DWORD dst_unused:UNUSED_PAD src0_sel:WORD_1 src1_sel:DWORD
	v_fma_f16 v0, v166, v2, v0
	v_lshrrev_b32_e32 v2, 16, v4
	v_sub_f16_e32 v0, v4, v0
	v_sub_f16_e32 v21, v2, v21
	v_fma_f16 v4, v4, 2.0, -v0
	v_fma_f16 v2, v2, 2.0, -v21
	v_pack_b32_f16 v2, v4, v2
	v_pack_b32_f16 v0, v0, v21
	ds_write2_b32 v194, v2, v0 offset1:240
	v_lshrrev_b32_e32 v0, 16, v3
	v_mul_f16_sdwa v2, v165, v0 dst_sel:DWORD dst_unused:UNUSED_PAD src0_sel:WORD_1 src1_sel:DWORD
	v_fma_f16 v2, v165, v3, v2
	v_mul_f16_sdwa v3, v165, v3 dst_sel:DWORD dst_unused:UNUSED_PAD src0_sel:WORD_1 src1_sel:DWORD
	v_fma_f16 v0, v165, v0, -v3
	v_lshrrev_b32_e32 v3, 16, v5
	v_sub_f16_e32 v2, v5, v2
	v_sub_f16_e32 v0, v3, v0
	v_fma_f16 v3, v3, 2.0, -v0
	v_fma_f16 v4, v5, 2.0, -v2
	v_pack_b32_f16 v3, v4, v3
	v_pack_b32_f16 v0, v2, v0
	ds_write2_b32 v197, v3, v0 offset1:240
	v_lshrrev_b32_e32 v0, 16, v7
	v_mul_f16_sdwa v2, v157, v7 dst_sel:DWORD dst_unused:UNUSED_PAD src0_sel:WORD_1 src1_sel:DWORD
	v_fma_f16 v2, v157, v0, -v2
	v_mul_f16_sdwa v0, v157, v0 dst_sel:DWORD dst_unused:UNUSED_PAD src0_sel:WORD_1 src1_sel:DWORD
	v_fma_f16 v0, v157, v7, v0
	v_lshrrev_b32_e32 v3, 16, v6
	v_sub_f16_e32 v0, v6, v0
	v_sub_f16_e32 v2, v3, v2
	v_fma_f16 v4, v6, 2.0, -v0
	v_fma_f16 v3, v3, 2.0, -v2
	v_pack_b32_f16 v3, v4, v3
	v_pack_b32_f16 v0, v0, v2
	ds_write2_b32 v198, v3, v0 offset1:240
	v_lshrrev_b32_e32 v0, 16, v8
	v_mul_f16_sdwa v2, v155, v0 dst_sel:DWORD dst_unused:UNUSED_PAD src0_sel:WORD_1 src1_sel:DWORD
	v_mul_f16_sdwa v3, v155, v8 dst_sel:DWORD dst_unused:UNUSED_PAD src0_sel:WORD_1 src1_sel:DWORD
	v_fma_f16 v2, v155, v8, v2
	v_fma_f16 v0, v155, v0, -v3
	v_lshrrev_b32_e32 v3, 16, v9
	v_sub_f16_e32 v2, v9, v2
	v_sub_f16_e32 v0, v3, v0
	v_fma_f16 v3, v3, 2.0, -v0
	v_fma_f16 v4, v9, 2.0, -v2
	v_pack_b32_f16 v3, v4, v3
	v_pack_b32_f16 v0, v2, v0
	ds_write2_b32 v199, v3, v0 offset1:240
	v_lshrrev_b32_e32 v0, 16, v11
	v_mul_f16_sdwa v2, v154, v11 dst_sel:DWORD dst_unused:UNUSED_PAD src0_sel:WORD_1 src1_sel:DWORD
	v_fma_f16 v2, v154, v0, -v2
	v_mul_f16_sdwa v0, v154, v0 dst_sel:DWORD dst_unused:UNUSED_PAD src0_sel:WORD_1 src1_sel:DWORD
	v_fma_f16 v0, v154, v11, v0
	v_lshrrev_b32_e32 v3, 16, v10
	v_sub_f16_e32 v0, v10, v0
	v_sub_f16_e32 v2, v3, v2
	v_fma_f16 v4, v10, 2.0, -v0
	v_fma_f16 v3, v3, 2.0, -v2
	v_pack_b32_f16 v3, v4, v3
	v_pack_b32_f16 v0, v0, v2
	ds_write2_b32 v202, v3, v0 offset1:240
	v_lshrrev_b32_e32 v0, 16, v12
	v_mul_f16_sdwa v2, v153, v0 dst_sel:DWORD dst_unused:UNUSED_PAD src0_sel:WORD_1 src1_sel:DWORD
	v_mul_f16_sdwa v3, v153, v12 dst_sel:DWORD dst_unused:UNUSED_PAD src0_sel:WORD_1 src1_sel:DWORD
	v_fma_f16 v2, v153, v12, v2
	;; [unrolled: 26-line block ×3, first 2 shown]
	v_fma_f16 v0, v186, v0, -v3
	v_lshrrev_b32_e32 v3, 16, v17
	v_sub_f16_e32 v2, v17, v2
	v_sub_f16_e32 v0, v3, v0
	v_fma_f16 v4, v17, 2.0, -v2
	v_fma_f16 v3, v3, 2.0, -v0
	v_pack_b32_f16 v3, v4, v3
	v_pack_b32_f16 v0, v2, v0
	v_lshrrev_b32_e32 v2, 16, v19
	v_mul_f16_sdwa v5, v182, v19 dst_sel:DWORD dst_unused:UNUSED_PAD src0_sel:WORD_1 src1_sel:DWORD
	ds_write2_b32 v200, v3, v0 offset1:240
	v_lshrrev_b32_e32 v3, 16, v20
	v_fma_f16 v5, v182, v2, -v5
	v_mul_f16_sdwa v2, v182, v2 dst_sel:DWORD dst_unused:UNUSED_PAD src0_sel:WORD_1 src1_sel:DWORD
	v_lshrrev_b32_e32 v4, 16, v18
	v_fma_f16 v2, v182, v19, v2
	v_mul_f16_sdwa v6, v181, v3 dst_sel:DWORD dst_unused:UNUSED_PAD src0_sel:WORD_1 src1_sel:DWORD
	v_mul_f16_sdwa v7, v181, v20 dst_sel:DWORD dst_unused:UNUSED_PAD src0_sel:WORD_1 src1_sel:DWORD
	v_lshrrev_b32_e32 v8, 16, v24
	v_mul_f16_sdwa v9, v180, v24 dst_sel:DWORD dst_unused:UNUSED_PAD src0_sel:WORD_1 src1_sel:DWORD
	v_lshrrev_b32_e32 v0, 16, v22
	v_fma_f16 v6, v181, v20, v6
	v_fma_f16 v3, v181, v3, -v7
	v_lshrrev_b32_e32 v7, 16, v25
	v_fma_f16 v9, v180, v8, -v9
	v_mul_f16_sdwa v8, v180, v8 dst_sel:DWORD dst_unused:UNUSED_PAD src0_sel:WORD_1 src1_sel:DWORD
	v_mul_f16_sdwa v11, v179, v25 dst_sel:DWORD dst_unused:UNUSED_PAD src0_sel:WORD_1 src1_sel:DWORD
	v_sub_f16_e32 v2, v18, v2
	v_sub_f16_e32 v5, v4, v5
	v_fma_f16 v8, v180, v24, v8
	v_mul_f16_sdwa v10, v179, v7 dst_sel:DWORD dst_unused:UNUSED_PAD src0_sel:WORD_1 src1_sel:DWORD
	v_lshrrev_b32_e32 v12, 16, v28
	v_fma_f16 v7, v179, v7, -v11
	v_lshrrev_b32_e32 v11, 16, v29
	v_mul_f16_sdwa v13, v178, v28 dst_sel:DWORD dst_unused:UNUSED_PAD src0_sel:WORD_1 src1_sel:DWORD
	v_mul_f16_sdwa v15, v177, v29 dst_sel:DWORD dst_unused:UNUSED_PAD src0_sel:WORD_1 src1_sel:DWORD
	v_lshrrev_b32_e32 v16, 16, v23
	v_fma_f16 v18, v18, 2.0, -v2
	v_sub_f16_e32 v6, v22, v6
	v_fma_f16 v4, v4, 2.0, -v5
	v_sub_f16_e32 v3, v0, v3
	v_fma_f16 v10, v179, v25, v10
	v_fma_f16 v13, v178, v12, -v13
	v_mul_f16_sdwa v12, v178, v12 dst_sel:DWORD dst_unused:UNUSED_PAD src0_sel:WORD_1 src1_sel:DWORD
	v_mul_f16_sdwa v14, v177, v11 dst_sel:DWORD dst_unused:UNUSED_PAD src0_sel:WORD_1 src1_sel:DWORD
	v_fma_f16 v11, v177, v11, -v15
	v_lshrrev_b32_e32 v15, 16, v26
	v_fma_f16 v19, v22, 2.0, -v6
	v_sub_f16_e32 v8, v23, v8
	v_fma_f16 v0, v0, 2.0, -v3
	v_sub_f16_e32 v9, v16, v9
	v_pack_b32_f16 v4, v18, v4
	v_pack_b32_f16 v2, v2, v5
	v_fma_f16 v12, v178, v28, v12
	v_lshrrev_b32_e32 v17, 16, v27
	v_fma_f16 v20, v23, 2.0, -v8
	v_sub_f16_e32 v10, v26, v10
	v_fma_f16 v16, v16, 2.0, -v9
	v_sub_f16_e32 v7, v15, v7
	ds_write2_b32 v190, v4, v2 offset1:240
	v_pack_b32_f16 v0, v19, v0
	v_pack_b32_f16 v2, v6, v3
	v_fma_f16 v14, v177, v29, v14
	v_fma_f16 v21, v26, 2.0, -v10
	v_sub_f16_e32 v12, v27, v12
	v_lshrrev_b32_e32 v23, 16, v1
	v_fma_f16 v15, v15, 2.0, -v7
	v_sub_f16_e32 v13, v17, v13
	ds_write2_b32 v184, v0, v2 offset1:240
	v_pack_b32_f16 v0, v20, v16
	v_pack_b32_f16 v2, v8, v9
	v_fma_f16 v22, v27, 2.0, -v12
	v_fma_f16 v17, v17, 2.0, -v13
	v_sub_f16_e32 v14, v1, v14
	v_sub_f16_e32 v11, v23, v11
	ds_write2_b32 v187, v0, v2 offset1:240
	v_pack_b32_f16 v0, v21, v15
	v_pack_b32_f16 v2, v10, v7
	v_fma_f16 v1, v1, 2.0, -v14
	v_fma_f16 v23, v23, 2.0, -v11
	ds_write2_b32 v188, v0, v2 offset1:240
	v_pack_b32_f16 v0, v22, v17
	v_pack_b32_f16 v2, v12, v13
	ds_write2_b32 v189, v0, v2 offset1:240
	v_pack_b32_f16 v0, v1, v23
	v_pack_b32_f16 v1, v14, v11
	ds_write2_b32 v191, v0, v1 offset1:240
	s_waitcnt lgkmcnt(0)
	s_barrier
	ds_read2st64_b32 v[1:2], v48 offset1:2
	ds_read2st64_b32 v[3:4], v48 offset0:28 offset1:30
	ds_read2st64_b32 v[5:6], v48 offset0:4 offset1:6
	ds_read2st64_b32 v[7:8], v48 offset0:32 offset1:34
	ds_read2st64_b32 v[9:10], v48 offset0:36 offset1:38
	ds_read2st64_b32 v[11:12], v48 offset0:8 offset1:10
	ds_read2st64_b32 v[13:14], v48 offset0:40 offset1:42
	ds_read2st64_b32 v[15:16], v48 offset0:12 offset1:14
	ds_read2st64_b32 v[17:18], v48 offset0:44 offset1:46
	ds_read2st64_b32 v[19:20], v48 offset0:16 offset1:18
	ds_read2st64_b32 v[22:23], v48 offset0:48 offset1:50
	ds_read2st64_b32 v[24:25], v48 offset0:20 offset1:22
	ds_read2st64_b32 v[26:27], v48 offset0:52 offset1:54
	s_waitcnt lgkmcnt(12)
	v_lshrrev_b32_e32 v0, 16, v1
	s_waitcnt lgkmcnt(11)
	v_lshrrev_b32_e32 v21, 16, v4
	v_mul_f16_sdwa v30, v211, v4 dst_sel:DWORD dst_unused:UNUSED_PAD src0_sel:WORD_1 src1_sel:DWORD
	v_fma_f16 v30, v211, v21, -v30
	v_mul_f16_sdwa v21, v211, v21 dst_sel:DWORD dst_unused:UNUSED_PAD src0_sel:WORD_1 src1_sel:DWORD
	s_waitcnt lgkmcnt(9)
	v_lshrrev_b32_e32 v29, 16, v8
	v_fma_f16 v4, v211, v4, v21
	v_mul_f16_sdwa v21, v218, v8 dst_sel:DWORD dst_unused:UNUSED_PAD src0_sel:WORD_1 src1_sel:DWORD
	v_fma_f16 v21, v218, v29, -v21
	v_mul_f16_sdwa v29, v218, v29 dst_sel:DWORD dst_unused:UNUSED_PAD src0_sel:WORD_1 src1_sel:DWORD
	v_lshrrev_b32_e32 v28, 16, v5
	v_fma_f16 v8, v218, v8, v29
	v_sub_f16_e32 v8, v5, v8
	v_sub_f16_e32 v21, v28, v21
	;; [unrolled: 1-line block ×4, first 2 shown]
	v_fma_f16 v4, v5, 2.0, -v8
	v_fma_f16 v5, v28, 2.0, -v21
	v_pack_b32_f16 v32, v4, v5
	v_pack_b32_f16 v33, v31, v30
	ds_read2st64_b32 v[4:5], v48 offset0:24 offset1:26
	ds_read2st64_b32 v[28:29], v48 offset0:56 offset1:58
	s_waitcnt lgkmcnt(0)
	s_barrier
	ds_write2_b32 v217, v32, v33 offset1:224
	v_lshrrev_b32_e32 v32, 16, v7
	v_mul_f16_sdwa v33, v203, v32 dst_sel:DWORD dst_unused:UNUSED_PAD src0_sel:WORD_1 src1_sel:DWORD
	v_fma_f16 v33, v203, v7, v33
	v_mul_f16_sdwa v7, v203, v7 dst_sel:DWORD dst_unused:UNUSED_PAD src0_sel:WORD_1 src1_sel:DWORD
	v_fma_f16 v7, v203, v32, -v7
	v_lshrrev_b32_e32 v32, 16, v9
	v_mul_f16_sdwa v34, v207, v9 dst_sel:DWORD dst_unused:UNUSED_PAD src0_sel:WORD_1 src1_sel:DWORD
	v_fma_f16 v34, v207, v32, -v34
	v_mul_f16_sdwa v32, v207, v32 dst_sel:DWORD dst_unused:UNUSED_PAD src0_sel:WORD_1 src1_sel:DWORD
	v_fma_f16 v9, v207, v9, v32
	v_lshrrev_b32_e32 v32, 16, v10
	v_mul_f16_sdwa v35, v206, v32 dst_sel:DWORD dst_unused:UNUSED_PAD src0_sel:WORD_1 src1_sel:DWORD
	v_fma_f16 v35, v206, v10, v35
	v_mul_f16_sdwa v10, v206, v10 dst_sel:DWORD dst_unused:UNUSED_PAD src0_sel:WORD_1 src1_sel:DWORD
	v_fma_f16 v10, v206, v32, -v10
	v_lshrrev_b32_e32 v32, 16, v13
	v_mul_f16_sdwa v36, v195, v13 dst_sel:DWORD dst_unused:UNUSED_PAD src0_sel:WORD_1 src1_sel:DWORD
	v_fma_f16 v36, v195, v32, -v36
	v_mul_f16_sdwa v32, v195, v32 dst_sel:DWORD dst_unused:UNUSED_PAD src0_sel:WORD_1 src1_sel:DWORD
	v_fma_f16 v13, v195, v13, v32
	;; [unrolled: 10-line block ×6, first 2 shown]
	v_lshrrev_b32_e32 v32, 16, v29
	v_mul_f16_sdwa v45, v208, v32 dst_sel:DWORD dst_unused:UNUSED_PAD src0_sel:WORD_1 src1_sel:DWORD
	v_fma_f16 v0, v0, 2.0, -v30
	v_lshrrev_b32_e32 v30, 16, v2
	v_fma_f16 v45, v208, v29, v45
	v_mul_f16_sdwa v29, v208, v29 dst_sel:DWORD dst_unused:UNUSED_PAD src0_sel:WORD_1 src1_sel:DWORD
	v_fma_f16 v1, v1, 2.0, -v31
	v_sub_f16_e32 v31, v2, v33
	v_sub_f16_e32 v7, v30, v7
	v_fma_f16 v29, v208, v32, -v29
	v_fma_f16 v2, v2, 2.0, -v31
	v_lshrrev_b32_e32 v32, 16, v6
	v_fma_f16 v30, v30, 2.0, -v7
	v_pack_b32_f16 v0, v1, v0
	v_pack_b32_f16 v2, v2, v30
	v_sub_f16_e32 v9, v6, v9
	v_sub_f16_e32 v34, v32, v34
	v_lshrrev_b32_e32 v1, 16, v11
	v_lshrrev_b32_e32 v30, 16, v12
	ds_write2st64_b32 v48, v0, v2 offset1:2
	v_lshrrev_b32_e32 v0, 16, v15
	v_fma_f16 v6, v6, 2.0, -v9
	v_fma_f16 v32, v32, 2.0, -v34
	v_pack_b32_f16 v7, v31, v7
	v_pack_b32_f16 v8, v8, v21
	v_sub_f16_e32 v33, v11, v35
	v_sub_f16_e32 v13, v12, v13
	;; [unrolled: 1-line block ×3, first 2 shown]
	v_pack_b32_f16 v6, v6, v32
	v_sub_f16_e32 v10, v1, v10
	v_sub_f16_e32 v32, v30, v36
	;; [unrolled: 1-line block ×3, first 2 shown]
	v_lshrrev_b32_e32 v2, 16, v16
	ds_write2st64_b32 v185, v7, v8 offset0:9 offset1:11
	v_fma_f16 v11, v11, 2.0, -v33
	v_fma_f16 v12, v12, 2.0, -v13
	;; [unrolled: 1-line block ×6, first 2 shown]
	ds_write_b32 v193, v6
	v_pack_b32_f16 v6, v9, v34
	v_sub_f16_e32 v17, v16, v17
	v_sub_f16_e32 v36, v2, v38
	ds_write_b32 v193, v6 offset:1920
	v_pack_b32_f16 v1, v11, v1
	v_pack_b32_f16 v6, v33, v10
	;; [unrolled: 1-line block ×4, first 2 shown]
	v_lshrrev_b32_e32 v31, 16, v19
	v_fma_f16 v16, v16, 2.0, -v17
	v_fma_f16 v2, v2, 2.0, -v36
	ds_write2st64_b32 v185, v1, v9 offset0:15 offset1:17
	v_pack_b32_f16 v1, v13, v32
	ds_write2_b32 v192, v0, v6 offset1:224
	v_pack_b32_f16 v0, v35, v14
	v_sub_f16_e32 v37, v19, v39
	v_sub_f16_e32 v18, v31, v18
	ds_write2st64_b32 v48, v1, v0 offset0:25 offset1:27
	v_pack_b32_f16 v0, v16, v2
	v_lshrrev_b32_e32 v21, 16, v20
	v_fma_f16 v19, v19, 2.0, -v37
	v_fma_f16 v31, v31, 2.0, -v18
	ds_write_b32 v221, v0
	v_pack_b32_f16 v0, v17, v36
	v_sub_f16_e32 v22, v20, v22
	v_sub_f16_e32 v38, v21, v40
	ds_write_b32 v221, v0 offset:1920
	v_pack_b32_f16 v0, v19, v31
	v_lshrrev_b32_e32 v7, 16, v24
	v_fma_f16 v20, v20, 2.0, -v22
	v_fma_f16 v21, v21, 2.0, -v38
	ds_write_b32 v176, v0 offset:7680
	v_pack_b32_f16 v0, v37, v18
	v_sub_f16_e32 v39, v24, v41
	v_sub_f16_e32 v23, v7, v23
	ds_write_b32 v176, v0 offset:9600
	v_pack_b32_f16 v0, v20, v21
	v_lshrrev_b32_e32 v8, 16, v25
	v_fma_f16 v24, v24, 2.0, -v39
	v_fma_f16 v7, v7, 2.0, -v23
	ds_write_b32 v175, v0 offset:7680
	v_pack_b32_f16 v0, v22, v38
	v_sub_f16_e32 v26, v25, v26
	v_sub_f16_e32 v40, v8, v42
	ds_write_b32 v175, v0 offset:9600
	v_pack_b32_f16 v0, v24, v7
	v_fma_f16 v25, v25, 2.0, -v26
	v_lshrrev_b32_e32 v41, 16, v4
	v_fma_f16 v8, v8, 2.0, -v40
	ds_write_b32 v174, v0 offset:7680
	v_pack_b32_f16 v0, v39, v23
	v_sub_f16_e32 v43, v4, v43
	v_sub_f16_e32 v27, v41, v27
	ds_write_b32 v174, v0 offset:9600
	v_pack_b32_f16 v0, v25, v8
	v_lshrrev_b32_e32 v46, 16, v5
	v_fma_f16 v4, v4, 2.0, -v43
	v_fma_f16 v41, v41, 2.0, -v27
	ds_write_b32 v223, v0
	v_pack_b32_f16 v0, v26, v40
	v_sub_f16_e32 v28, v5, v28
	v_sub_f16_e32 v42, v46, v44
	ds_write_b32 v223, v0 offset:1920
	v_pack_b32_f16 v0, v4, v41
	v_fma_f16 v5, v5, 2.0, -v28
	v_lshrrev_b32_e32 v47, 16, v3
	v_fma_f16 v44, v46, 2.0, -v42
	ds_write_b32 v173, v0 offset:11520
	v_pack_b32_f16 v0, v43, v27
	v_sub_f16_e32 v45, v3, v45
	v_sub_f16_e32 v29, v47, v29
	ds_write_b32 v173, v0 offset:13440
	v_pack_b32_f16 v0, v5, v44
	v_fma_f16 v3, v3, 2.0, -v45
	v_fma_f16 v46, v47, 2.0, -v29
	ds_write_b32 v137, v0 offset:11520
	v_pack_b32_f16 v0, v28, v42
	ds_write_b32 v137, v0 offset:13440
	v_pack_b32_f16 v0, v3, v46
	;; [unrolled: 2-line block ×3, first 2 shown]
	ds_write_b32 v134, v0 offset:13440
	s_waitcnt lgkmcnt(0)
	s_barrier
	ds_read2st64_b32 v[1:2], v48 offset1:2
	ds_read2st64_b32 v[3:4], v48 offset0:28 offset1:30
	ds_read2st64_b32 v[5:6], v48 offset0:32 offset1:34
	;; [unrolled: 1-line block ×5, first 2 shown]
	s_waitcnt lgkmcnt(4)
	v_lshrrev_b32_e32 v21, 16, v4
	v_mul_f16_sdwa v76, v216, v4 dst_sel:DWORD dst_unused:UNUSED_PAD src0_sel:WORD_1 src1_sel:DWORD
	v_fma_f16 v76, v216, v21, -v76
	v_mul_f16_sdwa v21, v216, v21 dst_sel:DWORD dst_unused:UNUSED_PAD src0_sel:WORD_1 src1_sel:DWORD
	s_waitcnt lgkmcnt(2)
	v_lshrrev_b32_e32 v37, 16, v9
	v_fma_f16 v4, v216, v4, v21
	v_mul_f16_sdwa v21, v229, v9 dst_sel:DWORD dst_unused:UNUSED_PAD src0_sel:WORD_1 src1_sel:DWORD
	v_lshrrev_b32_e32 v39, 16, v10
	v_fma_f16 v21, v229, v37, -v21
	v_mul_f16_sdwa v37, v229, v37 dst_sel:DWORD dst_unused:UNUSED_PAD src0_sel:WORD_1 src1_sel:DWORD
	v_fma_f16 v9, v229, v9, v37
	v_mul_f16_sdwa v37, v230, v39 dst_sel:DWORD dst_unused:UNUSED_PAD src0_sel:WORD_1 src1_sel:DWORD
	s_waitcnt lgkmcnt(1)
	v_lshrrev_b32_e32 v41, 16, v13
	v_fma_f16 v37, v230, v10, v37
	v_mul_f16_sdwa v10, v230, v10 dst_sel:DWORD dst_unused:UNUSED_PAD src0_sel:WORD_1 src1_sel:DWORD
	v_fma_f16 v10, v230, v39, -v10
	v_mul_f16_sdwa v39, v231, v41 dst_sel:DWORD dst_unused:UNUSED_PAD src0_sel:WORD_1 src1_sel:DWORD
	v_lshrrev_b32_e32 v43, 16, v14
	v_fma_f16 v39, v231, v13, v39
	v_mul_f16_sdwa v13, v231, v13 dst_sel:DWORD dst_unused:UNUSED_PAD src0_sel:WORD_1 src1_sel:DWORD
	ds_read2st64_b32 v[22:23], v48 offset0:48 offset1:50
	v_fma_f16 v13, v231, v41, -v13
	v_mul_f16_sdwa v41, v233, v43 dst_sel:DWORD dst_unused:UNUSED_PAD src0_sel:WORD_1 src1_sel:DWORD
	s_waitcnt lgkmcnt(1)
	v_lshrrev_b32_e32 v45, 16, v17
	v_fma_f16 v41, v233, v14, v41
	v_mul_f16_sdwa v14, v233, v14 dst_sel:DWORD dst_unused:UNUSED_PAD src0_sel:WORD_1 src1_sel:DWORD
	ds_read2st64_b32 v[7:8], v48 offset0:4 offset1:6
	v_fma_f16 v14, v233, v43, -v14
	v_mul_f16_sdwa v43, v234, v45 dst_sel:DWORD dst_unused:UNUSED_PAD src0_sel:WORD_1 src1_sel:DWORD
	v_lshrrev_b32_e32 v33, 16, v5
	v_lshrrev_b32_e32 v47, 16, v18
	v_mul_f16_sdwa v74, v235, v5 dst_sel:DWORD dst_unused:UNUSED_PAD src0_sel:WORD_1 src1_sel:DWORD
	v_fma_f16 v43, v234, v17, v43
	v_mul_f16_sdwa v17, v234, v17 dst_sel:DWORD dst_unused:UNUSED_PAD src0_sel:WORD_1 src1_sel:DWORD
	ds_read2st64_b32 v[11:12], v48 offset0:8 offset1:10
	v_lshrrev_b32_e32 v35, 16, v6
	v_fma_f16 v74, v235, v33, -v74
	v_mul_f16_sdwa v33, v235, v33 dst_sel:DWORD dst_unused:UNUSED_PAD src0_sel:WORD_1 src1_sel:DWORD
	v_fma_f16 v17, v234, v45, -v17
	v_mul_f16_sdwa v45, v224, v47 dst_sel:DWORD dst_unused:UNUSED_PAD src0_sel:WORD_1 src1_sel:DWORD
	v_lshrrev_b32_e32 v0, 16, v1
	v_lshrrev_b32_e32 v32, 16, v2
	ds_read2st64_b32 v[15:16], v48 offset0:12 offset1:14
	ds_read2st64_b32 v[19:20], v48 offset0:16 offset1:18
	;; [unrolled: 1-line block ×3, first 2 shown]
	s_waitcnt lgkmcnt(5)
	v_lshrrev_b32_e32 v50, 16, v22
	ds_read2st64_b32 v[26:27], v48 offset0:52 offset1:54
	ds_read2st64_b32 v[28:29], v48 offset0:24 offset1:26
	v_fma_f16 v5, v235, v5, v33
	v_mul_f16_sdwa v33, v232, v35 dst_sel:DWORD dst_unused:UNUSED_PAD src0_sel:WORD_1 src1_sel:DWORD
	v_fma_f16 v45, v224, v18, v45
	v_mul_f16_sdwa v18, v224, v18 dst_sel:DWORD dst_unused:UNUSED_PAD src0_sel:WORD_1 src1_sel:DWORD
	;; [unrolled: 2-line block ×3, first 2 shown]
	v_fma_f16 v18, v224, v47, -v18
	v_mul_f16_sdwa v47, v222, v50 dst_sel:DWORD dst_unused:UNUSED_PAD src0_sel:WORD_1 src1_sel:DWORD
	v_sub_f16_e32 v4, v1, v4
	v_sub_f16_e32 v76, v0, v76
	;; [unrolled: 1-line block ×4, first 2 shown]
	s_waitcnt lgkmcnt(6)
	v_lshrrev_b32_e32 v34, 16, v7
	v_lshrrev_b32_e32 v36, 16, v8
	;; [unrolled: 1-line block ×3, first 2 shown]
	v_fma_f16 v6, v232, v35, -v6
	v_fma_f16 v47, v222, v22, v47
	v_mul_f16_sdwa v22, v222, v22 dst_sel:DWORD dst_unused:UNUSED_PAD src0_sel:WORD_1 src1_sel:DWORD
	v_fma_f16 v1, v1, 2.0, -v4
	v_fma_f16 v0, v0, 2.0, -v76
	;; [unrolled: 1-line block ×4, first 2 shown]
	ds_read2st64_b32 v[30:31], v48 offset0:56 offset1:58
	v_fma_f16 v22, v222, v50, -v22
	v_mul_f16_sdwa v50, v220, v52 dst_sel:DWORD dst_unused:UNUSED_PAD src0_sel:WORD_1 src1_sel:DWORD
	v_sub_f16_e32 v33, v7, v33
	v_sub_f16_e32 v6, v34, v6
	;; [unrolled: 1-line block ×4, first 2 shown]
	v_pack_b32_f16 v0, v1, v0
	v_pack_b32_f16 v2, v2, v32
	s_waitcnt lgkmcnt(6)
	v_lshrrev_b32_e32 v38, 16, v11
	v_lshrrev_b32_e32 v40, 16, v12
	s_waitcnt lgkmcnt(2)
	v_lshrrev_b32_e32 v54, 16, v26
	v_fma_f16 v50, v220, v23, v50
	v_mul_f16_sdwa v23, v220, v23 dst_sel:DWORD dst_unused:UNUSED_PAD src0_sel:WORD_1 src1_sel:DWORD
	v_fma_f16 v7, v7, 2.0, -v33
	v_fma_f16 v34, v34, 2.0, -v6
	;; [unrolled: 1-line block ×4, first 2 shown]
	s_waitcnt lgkmcnt(0)
	s_barrier
	v_pack_b32_f16 v1, v4, v76
	ds_write2st64_b32 v48, v0, v2 offset1:2
	v_pack_b32_f16 v0, v5, v74
	v_pack_b32_f16 v4, v33, v6
	v_lshrrev_b32_e32 v42, 16, v15
	v_fma_f16 v23, v220, v52, -v23
	v_mul_f16_sdwa v52, v219, v54 dst_sel:DWORD dst_unused:UNUSED_PAD src0_sel:WORD_1 src1_sel:DWORD
	v_sub_f16_e32 v37, v11, v37
	v_sub_f16_e32 v10, v38, v10
	;; [unrolled: 1-line block ×4, first 2 shown]
	v_pack_b32_f16 v2, v7, v34
	ds_write2st64_b32 v48, v0, v4 offset0:17 offset1:19
	v_pack_b32_f16 v0, v8, v36
	v_lshrrev_b32_e32 v56, 16, v27
	v_fma_f16 v52, v219, v26, v52
	v_mul_f16_sdwa v26, v219, v26 dst_sel:DWORD dst_unused:UNUSED_PAD src0_sel:WORD_1 src1_sel:DWORD
	v_fma_f16 v11, v11, 2.0, -v37
	v_fma_f16 v38, v38, 2.0, -v10
	;; [unrolled: 1-line block ×4, first 2 shown]
	v_sub_f16_e32 v41, v15, v41
	v_sub_f16_e32 v14, v42, v14
	ds_write2st64_b32 v48, v2, v0 offset0:4 offset1:6
	v_pack_b32_f16 v0, v9, v21
	v_pack_b32_f16 v4, v37, v10
	v_lshrrev_b32_e32 v44, 16, v16
	v_fma_f16 v26, v219, v54, -v26
	v_mul_f16_sdwa v54, v227, v56 dst_sel:DWORD dst_unused:UNUSED_PAD src0_sel:WORD_1 src1_sel:DWORD
	v_fma_f16 v15, v15, 2.0, -v41
	v_fma_f16 v42, v42, 2.0, -v14
	v_pack_b32_f16 v2, v11, v38
	ds_write2st64_b32 v48, v0, v4 offset0:21 offset1:23
	v_pack_b32_f16 v0, v12, v40
	v_lshrrev_b32_e32 v46, 16, v19
	v_lshrrev_b32_e32 v49, 16, v20
	;; [unrolled: 1-line block ×3, first 2 shown]
	v_fma_f16 v54, v227, v27, v54
	v_mul_f16_sdwa v27, v227, v27 dst_sel:DWORD dst_unused:UNUSED_PAD src0_sel:WORD_1 src1_sel:DWORD
	v_sub_f16_e32 v43, v16, v43
	v_sub_f16_e32 v17, v44, v17
	ds_write2st64_b32 v48, v2, v0 offset0:8 offset1:10
	v_pack_b32_f16 v2, v15, v42
	v_fma_f16 v27, v227, v56, -v27
	v_mul_f16_sdwa v56, v226, v75 dst_sel:DWORD dst_unused:UNUSED_PAD src0_sel:WORD_1 src1_sel:DWORD
	v_fma_f16 v16, v16, 2.0, -v43
	v_fma_f16 v44, v44, 2.0, -v17
	v_sub_f16_e32 v45, v19, v45
	v_sub_f16_e32 v18, v46, v18
	;; [unrolled: 1-line block ×4, first 2 shown]
	v_pack_b32_f16 v0, v39, v13
	ds_write2st64_b32 v48, v2, v1 offset0:12 offset1:15
	v_pack_b32_f16 v1, v41, v14
	v_lshrrev_b32_e32 v51, 16, v24
	v_lshrrev_b32_e32 v53, 16, v25
	;; [unrolled: 1-line block ×3, first 2 shown]
	v_fma_f16 v56, v226, v30, v56
	v_mul_f16_sdwa v30, v226, v30 dst_sel:DWORD dst_unused:UNUSED_PAD src0_sel:WORD_1 src1_sel:DWORD
	v_fma_f16 v19, v19, 2.0, -v45
	v_fma_f16 v46, v46, 2.0, -v18
	;; [unrolled: 1-line block ×4, first 2 shown]
	ds_write2st64_b32 v48, v0, v1 offset0:25 offset1:27
	v_pack_b32_f16 v0, v16, v44
	v_pack_b32_f16 v1, v43, v17
	v_fma_f16 v30, v226, v75, -v30
	v_mul_f16_sdwa v75, v225, v77 dst_sel:DWORD dst_unused:UNUSED_PAD src0_sel:WORD_1 src1_sel:DWORD
	v_sub_f16_e32 v50, v24, v50
	v_sub_f16_e32 v23, v51, v23
	;; [unrolled: 1-line block ×4, first 2 shown]
	ds_write2st64_b32 v228, v0, v1 offset1:15
	v_pack_b32_f16 v0, v19, v46
	v_pack_b32_f16 v2, v20, v49
	v_lshrrev_b32_e32 v55, 16, v28
	v_lshrrev_b32_e32 v57, 16, v29
	v_fma_f16 v75, v225, v31, v75
	v_mul_f16_sdwa v31, v225, v31 dst_sel:DWORD dst_unused:UNUSED_PAD src0_sel:WORD_1 src1_sel:DWORD
	v_fma_f16 v24, v24, 2.0, -v50
	v_fma_f16 v51, v51, 2.0, -v23
	v_fma_f16 v25, v25, 2.0, -v52
	v_fma_f16 v53, v53, 2.0, -v26
	ds_write2st64_b32 v48, v0, v2 offset0:31 offset1:33
	v_pack_b32_f16 v0, v47, v22
	v_pack_b32_f16 v4, v50, v23
	v_lshrrev_b32_e32 v35, 16, v3
	v_fma_f16 v31, v225, v77, -v31
	v_sub_f16_e32 v54, v28, v54
	v_sub_f16_e32 v27, v55, v27
	;; [unrolled: 1-line block ×4, first 2 shown]
	v_pack_b32_f16 v2, v24, v51
	ds_write2st64_b32 v48, v0, v4 offset0:48 offset1:50
	v_pack_b32_f16 v0, v25, v53
	v_fma_f16 v28, v28, 2.0, -v54
	v_fma_f16 v55, v55, 2.0, -v27
	;; [unrolled: 1-line block ×4, first 2 shown]
	v_sub_f16_e32 v75, v3, v75
	v_sub_f16_e32 v31, v35, v31
	ds_write2st64_b32 v48, v2, v0 offset0:35 offset1:37
	v_pack_b32_f16 v0, v52, v26
	v_pack_b32_f16 v4, v54, v27
	v_fma_f16 v3, v3, 2.0, -v75
	v_fma_f16 v35, v35, 2.0, -v31
	v_pack_b32_f16 v2, v28, v55
	ds_write2st64_b32 v48, v0, v4 offset0:52 offset1:54
	v_pack_b32_f16 v0, v29, v57
	v_pack_b32_f16 v1, v45, v18
	ds_write2st64_b32 v48, v2, v0 offset0:39 offset1:41
	v_pack_b32_f16 v2, v3, v35
	;; [unrolled: 3-line block ×3, first 2 shown]
	ds_write2st64_b32 v48, v0, v1 offset0:56 offset1:58
	s_waitcnt lgkmcnt(0)
	s_barrier
	ds_read2st64_b32 v[1:2], v48 offset1:2
	ds_read2st64_b32 v[3:4], v48 offset0:28 offset1:30
	ds_read2st64_b32 v[5:6], v48 offset0:32 offset1:34
	;; [unrolled: 1-line block ×5, first 2 shown]
	s_waitcnt lgkmcnt(4)
	v_lshrrev_b32_e32 v21, 16, v4
	v_mul_f16_sdwa v77, v238, v21 dst_sel:DWORD dst_unused:UNUSED_PAD src0_sel:WORD_1 src1_sel:DWORD
	s_waitcnt lgkmcnt(3)
	v_lshrrev_b32_e32 v33, 16, v5
	v_fma_f16 v77, v238, v4, v77
	v_mul_f16_sdwa v4, v238, v4 dst_sel:DWORD dst_unused:UNUSED_PAD src0_sel:WORD_1 src1_sel:DWORD
	v_fma_f16 v4, v238, v21, -v4
	v_mul_f16_sdwa v21, v239, v33 dst_sel:DWORD dst_unused:UNUSED_PAD src0_sel:WORD_1 src1_sel:DWORD
	v_lshrrev_b32_e32 v35, 16, v6
	v_fma_f16 v21, v239, v5, v21
	v_mul_f16_sdwa v5, v239, v5 dst_sel:DWORD dst_unused:UNUSED_PAD src0_sel:WORD_1 src1_sel:DWORD
	v_fma_f16 v5, v239, v33, -v5
	v_mul_f16_sdwa v33, v240, v35 dst_sel:DWORD dst_unused:UNUSED_PAD src0_sel:WORD_1 src1_sel:DWORD
	s_waitcnt lgkmcnt(2)
	v_lshrrev_b32_e32 v37, 16, v9
	v_fma_f16 v33, v240, v6, v33
	v_mul_f16_sdwa v6, v240, v6 dst_sel:DWORD dst_unused:UNUSED_PAD src0_sel:WORD_1 src1_sel:DWORD
	v_fma_f16 v6, v240, v35, -v6
	v_mul_f16_sdwa v35, v237, v37 dst_sel:DWORD dst_unused:UNUSED_PAD src0_sel:WORD_1 src1_sel:DWORD
	v_lshrrev_b32_e32 v39, 16, v10
	v_fma_f16 v35, v237, v9, v35
	v_mul_f16_sdwa v9, v237, v9 dst_sel:DWORD dst_unused:UNUSED_PAD src0_sel:WORD_1 src1_sel:DWORD
	v_fma_f16 v9, v237, v37, -v9
	;; [unrolled: 11-line block ×3, first 2 shown]
	v_mul_f16_sdwa v41, v242, v43 dst_sel:DWORD dst_unused:UNUSED_PAD src0_sel:WORD_1 src1_sel:DWORD
	ds_read2st64_b32 v[7:8], v48 offset0:4 offset1:6
	ds_read2st64_b32 v[11:12], v48 offset0:8 offset1:10
	;; [unrolled: 1-line block ×4, first 2 shown]
	s_waitcnt lgkmcnt(4)
	v_lshrrev_b32_e32 v45, 16, v17
	ds_read2st64_b32 v[22:23], v48 offset0:48 offset1:50
	ds_read2st64_b32 v[24:25], v48 offset0:20 offset1:22
	v_fma_f16 v41, v242, v14, v41
	v_mul_f16_sdwa v14, v242, v14 dst_sel:DWORD dst_unused:UNUSED_PAD src0_sel:WORD_1 src1_sel:DWORD
	v_fma_f16 v14, v242, v43, -v14
	v_mul_f16_sdwa v43, v241, v45 dst_sel:DWORD dst_unused:UNUSED_PAD src0_sel:WORD_1 src1_sel:DWORD
	v_lshrrev_b32_e32 v47, 16, v18
	v_fma_f16 v43, v241, v17, v43
	v_mul_f16_sdwa v17, v241, v17 dst_sel:DWORD dst_unused:UNUSED_PAD src0_sel:WORD_1 src1_sel:DWORD
	v_fma_f16 v17, v241, v45, -v17
	v_mul_f16_sdwa v45, v244, v47 dst_sel:DWORD dst_unused:UNUSED_PAD src0_sel:WORD_1 src1_sel:DWORD
	s_waitcnt lgkmcnt(1)
	v_lshrrev_b32_e32 v50, 16, v22
	ds_read2st64_b32 v[26:27], v48 offset0:52 offset1:54
	ds_read2st64_b32 v[28:29], v48 offset0:24 offset1:26
	v_fma_f16 v45, v244, v18, v45
	v_mul_f16_sdwa v18, v244, v18 dst_sel:DWORD dst_unused:UNUSED_PAD src0_sel:WORD_1 src1_sel:DWORD
	v_fma_f16 v18, v244, v47, -v18
	v_mul_f16_sdwa v47, v245, v50 dst_sel:DWORD dst_unused:UNUSED_PAD src0_sel:WORD_1 src1_sel:DWORD
	v_lshrrev_b32_e32 v52, 16, v23
	v_fma_f16 v47, v245, v22, v47
	v_mul_f16_sdwa v22, v245, v22 dst_sel:DWORD dst_unused:UNUSED_PAD src0_sel:WORD_1 src1_sel:DWORD
	ds_read2st64_b32 v[30:31], v48 offset0:56 offset1:58
	v_fma_f16 v22, v245, v50, -v22
	v_mul_f16_sdwa v50, v246, v52 dst_sel:DWORD dst_unused:UNUSED_PAD src0_sel:WORD_1 src1_sel:DWORD
	s_waitcnt lgkmcnt(2)
	v_lshrrev_b32_e32 v54, 16, v26
	v_fma_f16 v50, v246, v23, v50
	v_mul_f16_sdwa v23, v246, v23 dst_sel:DWORD dst_unused:UNUSED_PAD src0_sel:WORD_1 src1_sel:DWORD
	v_fma_f16 v23, v246, v52, -v23
	v_mul_f16_sdwa v52, v247, v54 dst_sel:DWORD dst_unused:UNUSED_PAD src0_sel:WORD_1 src1_sel:DWORD
	v_lshrrev_b32_e32 v56, 16, v27
	v_fma_f16 v52, v247, v26, v52
	v_mul_f16_sdwa v26, v247, v26 dst_sel:DWORD dst_unused:UNUSED_PAD src0_sel:WORD_1 src1_sel:DWORD
	v_fma_f16 v26, v247, v54, -v26
	v_mul_f16_sdwa v54, v248, v56 dst_sel:DWORD dst_unused:UNUSED_PAD src0_sel:WORD_1 src1_sel:DWORD
	s_waitcnt lgkmcnt(0)
	v_lshrrev_b32_e32 v74, 16, v30
	v_fma_f16 v54, v248, v27, v54
	v_mul_f16_sdwa v27, v248, v27 dst_sel:DWORD dst_unused:UNUSED_PAD src0_sel:WORD_1 src1_sel:DWORD
	v_fma_f16 v27, v248, v56, -v27
	v_mul_f16_sdwa v56, v249, v74 dst_sel:DWORD dst_unused:UNUSED_PAD src0_sel:WORD_1 src1_sel:DWORD
	v_lshrrev_b32_e32 v76, 16, v31
	v_fma_f16 v56, v249, v30, v56
	v_mul_f16_sdwa v30, v249, v30 dst_sel:DWORD dst_unused:UNUSED_PAD src0_sel:WORD_1 src1_sel:DWORD
	v_fma_f16 v30, v249, v74, -v30
	v_mul_f16_sdwa v74, v250, v76 dst_sel:DWORD dst_unused:UNUSED_PAD src0_sel:WORD_1 src1_sel:DWORD
	v_lshrrev_b32_e32 v0, 16, v1
	v_lshrrev_b32_e32 v32, 16, v2
	v_fma_f16 v74, v250, v31, v74
	v_mul_f16_sdwa v31, v250, v31 dst_sel:DWORD dst_unused:UNUSED_PAD src0_sel:WORD_1 src1_sel:DWORD
	v_fma_f16 v31, v250, v76, -v31
	v_sub_f16_e32 v76, v1, v77
	v_sub_f16_e32 v4, v0, v4
	;; [unrolled: 1-line block ×4, first 2 shown]
	v_lshrrev_b32_e32 v34, 16, v7
	v_lshrrev_b32_e32 v36, 16, v8
	v_fma_f16 v1, v1, 2.0, -v76
	v_fma_f16 v0, v0, 2.0, -v4
	;; [unrolled: 1-line block ×4, first 2 shown]
	v_sub_f16_e32 v33, v7, v33
	v_sub_f16_e32 v6, v34, v6
	;; [unrolled: 1-line block ×4, first 2 shown]
	v_pack_b32_f16 v0, v1, v0
	v_pack_b32_f16 v2, v2, v32
	v_lshrrev_b32_e32 v38, 16, v11
	v_lshrrev_b32_e32 v40, 16, v12
	v_fma_f16 v7, v7, 2.0, -v33
	v_fma_f16 v34, v34, 2.0, -v6
	;; [unrolled: 1-line block ×4, first 2 shown]
	v_pack_b32_f16 v1, v76, v4
	ds_write2st64_b32 v48, v0, v2 offset1:2
	v_pack_b32_f16 v0, v21, v5
	v_pack_b32_f16 v4, v33, v6
	v_sub_f16_e32 v37, v11, v37
	v_sub_f16_e32 v10, v38, v10
	v_sub_f16_e32 v39, v12, v39
	v_sub_f16_e32 v13, v40, v13
	v_pack_b32_f16 v2, v7, v34
	ds_write2st64_b32 v48, v0, v4 offset0:32 offset1:34
	v_pack_b32_f16 v0, v8, v36
	v_lshrrev_b32_e32 v42, 16, v15
	v_lshrrev_b32_e32 v44, 16, v16
	v_fma_f16 v11, v11, 2.0, -v37
	v_fma_f16 v38, v38, 2.0, -v10
	v_fma_f16 v12, v12, 2.0, -v39
	v_fma_f16 v40, v40, 2.0, -v13
	ds_write2st64_b32 v48, v2, v0 offset0:4 offset1:6
	v_pack_b32_f16 v0, v35, v9
	v_pack_b32_f16 v4, v37, v10
	v_sub_f16_e32 v41, v15, v41
	v_sub_f16_e32 v14, v42, v14
	v_sub_f16_e32 v43, v16, v43
	v_sub_f16_e32 v17, v44, v17
	v_pack_b32_f16 v2, v11, v38
	ds_write2st64_b32 v48, v0, v4 offset0:36 offset1:38
	v_pack_b32_f16 v0, v12, v40
	v_lshrrev_b32_e32 v46, 16, v19
	v_lshrrev_b32_e32 v49, 16, v20
	v_fma_f16 v15, v15, 2.0, -v41
	v_fma_f16 v42, v42, 2.0, -v14
	v_fma_f16 v16, v16, 2.0, -v43
	v_fma_f16 v44, v44, 2.0, -v17
	ds_write2st64_b32 v48, v2, v0 offset0:8 offset1:10
	;; [unrolled: 16-line block ×4, first 2 shown]
	v_pack_b32_f16 v0, v47, v22
	v_pack_b32_f16 v4, v50, v23
	v_lshrrev_b32_e32 v75, 16, v3
	v_sub_f16_e32 v54, v28, v54
	v_sub_f16_e32 v27, v55, v27
	;; [unrolled: 1-line block ×4, first 2 shown]
	v_pack_b32_f16 v2, v24, v51
	ds_write2st64_b32 v48, v0, v4 offset0:48 offset1:50
	v_pack_b32_f16 v0, v25, v53
	v_fma_f16 v28, v28, 2.0, -v54
	v_fma_f16 v55, v55, 2.0, -v27
	;; [unrolled: 1-line block ×4, first 2 shown]
	v_sub_f16_e32 v74, v3, v74
	v_sub_f16_e32 v31, v75, v31
	ds_write2st64_b32 v48, v2, v0 offset0:20 offset1:22
	v_pack_b32_f16 v0, v52, v26
	v_pack_b32_f16 v4, v54, v27
	v_fma_f16 v3, v3, 2.0, -v74
	v_fma_f16 v75, v75, 2.0, -v31
	v_pack_b32_f16 v2, v28, v55
	ds_write2st64_b32 v48, v0, v4 offset0:52 offset1:54
	v_pack_b32_f16 v0, v29, v57
	ds_write2st64_b32 v48, v2, v0 offset0:24 offset1:26
	v_pack_b32_f16 v2, v3, v75
	v_pack_b32_f16 v0, v56, v30
	ds_write2st64_b32 v48, v2, v1 offset0:28 offset1:30
	v_pack_b32_f16 v1, v74, v31
	ds_write2st64_b32 v48, v0, v1 offset0:56 offset1:58
	s_waitcnt lgkmcnt(0)
	s_barrier
	ds_read2st64_b32 v[6:7], v48 offset1:2
	buffer_load_dword v2, off, s[24:27], 0 offset:60 ; 4-byte Folded Reload
	buffer_load_dword v3, off, s[24:27], 0 offset:64 ; 4-byte Folded Reload
	v_mov_b32_e32 v16, 0x7c00
	v_mov_b32_e32 v23, 0xffffcc00
	s_waitcnt lgkmcnt(0)
	v_lshrrev_b32_e32 v0, 16, v6
	v_mul_f16_sdwa v1, v73, v0 dst_sel:DWORD dst_unused:UNUSED_PAD src0_sel:WORD_1 src1_sel:DWORD
	v_fma_f16 v1, v73, v6, v1
	v_cvt_f32_f16_e32 v1, v1
	v_mul_f16_sdwa v6, v73, v6 dst_sel:DWORD dst_unused:UNUSED_PAD src0_sel:WORD_1 src1_sel:DWORD
	v_fma_f16 v0, v73, v0, -v6
	v_cvt_f32_f16_e32 v0, v0
	s_waitcnt vmcnt(1)
	v_mov_b32_e32 v5, v2
	v_cvt_f64_f32_e32 v[1:2], v1
	s_waitcnt vmcnt(0)
	v_mad_u64_u32 v[3:4], s[0:1], s10, v5, 0
	s_movk_i32 s10, 0x40f
	v_mul_f64 v[1:2], v[1:2], s[2:3]
	v_mad_u64_u32 v[4:5], s[0:1], s11, v5, v[4:5]
	s_mov_b32 s11, 0x8000
	v_lshlrev_b64 v[3:4], 2, v[3:4]
	v_and_or_b32 v1, v2, s6, v1
	v_cmp_ne_u32_e32 vcc, 0, v1
	v_cndmask_b32_e64 v1, 0, 1, vcc
	v_lshrrev_b32_e32 v5, 8, v2
	v_bfe_u32 v8, v2, 20, 11
	v_and_or_b32 v1, v5, s7, v1
	v_sub_u32_e32 v9, 0x3f1, v8
	v_or_b32_e32 v5, 0x1000, v1
	v_med3_i32 v9, v9, 0, 13
	v_lshrrev_b32_e32 v10, v9, v5
	v_lshlrev_b32_e32 v9, v9, v10
	v_cmp_ne_u32_e32 vcc, v9, v5
	v_cndmask_b32_e64 v5, 0, 1, vcc
	v_add_u32_e32 v8, 0xfffffc10, v8
	v_or_b32_e32 v5, v10, v5
	v_lshl_or_b32 v9, v8, 12, v1
	v_cmp_gt_i32_e32 vcc, 1, v8
	v_cndmask_b32_e32 v5, v9, v5, vcc
	v_and_b32_e32 v9, 7, v5
	v_cmp_lt_i32_e32 vcc, 5, v9
	v_cmp_eq_u32_e64 s[0:1], 3, v9
	v_lshrrev_b32_e32 v5, 2, v5
	s_or_b64 vcc, s[0:1], vcc
	v_addc_co_u32_e32 v9, vcc, 0, v5, vcc
	v_cvt_f64_f32_e32 v[5:6], v0
	v_cmp_gt_i32_e32 vcc, 31, v8
	v_cndmask_b32_e32 v0, v16, v9, vcc
	v_cmp_ne_u32_e32 vcc, 0, v1
	v_mul_f64 v[5:6], v[5:6], s[2:3]
	v_cndmask_b32_e64 v1, 0, 1, vcc
	v_lshl_or_b32 v1, v1, 9, v16
	v_cmp_eq_u32_e32 vcc, s10, v8
	v_cndmask_b32_e32 v0, v0, v1, vcc
	v_lshrrev_b32_e32 v1, 16, v2
	v_and_or_b32 v0, v1, s11, v0
	v_and_b32_e32 v0, 0xffff, v0
	v_and_or_b32 v1, v6, s6, v5
	v_cmp_ne_u32_e32 vcc, 0, v1
	v_cndmask_b32_e64 v1, 0, 1, vcc
	v_lshrrev_b32_e32 v2, 8, v6
	v_bfe_u32 v5, v6, 20, 11
	v_and_or_b32 v1, v2, s7, v1
	v_sub_u32_e32 v8, 0x3f1, v5
	v_or_b32_e32 v2, 0x1000, v1
	v_med3_i32 v8, v8, 0, 13
	v_lshrrev_b32_e32 v9, v8, v2
	v_lshlrev_b32_e32 v8, v8, v9
	v_cmp_ne_u32_e32 vcc, v8, v2
	v_cndmask_b32_e64 v2, 0, 1, vcc
	v_add_u32_e32 v5, 0xfffffc10, v5
	v_or_b32_e32 v2, v9, v2
	v_lshl_or_b32 v8, v5, 12, v1
	v_cmp_gt_i32_e32 vcc, 1, v5
	v_cndmask_b32_e32 v2, v8, v2, vcc
	v_and_b32_e32 v8, 7, v2
	v_cmp_lt_i32_e32 vcc, 5, v8
	v_cmp_eq_u32_e64 s[0:1], 3, v8
	v_lshrrev_b32_e32 v2, 2, v2
	s_or_b64 vcc, s[0:1], vcc
	v_addc_co_u32_e32 v2, vcc, 0, v2, vcc
	v_cmp_gt_i32_e32 vcc, 31, v5
	v_cndmask_b32_e32 v2, v16, v2, vcc
	v_cmp_ne_u32_e32 vcc, 0, v1
	v_cndmask_b32_e64 v1, 0, 1, vcc
	v_lshl_or_b32 v1, v1, 9, v16
	v_cmp_eq_u32_e32 vcc, s10, v5
	v_mad_u64_u32 v[8:9], s[0:1], s8, v58, 0
	v_cndmask_b32_e32 v10, v2, v1, vcc
	ds_read2st64_b32 v[1:2], v48 offset0:4 offset1:6
	v_mov_b32_e32 v5, v9
	v_lshrrev_b32_e32 v11, 16, v6
	v_mad_u64_u32 v[5:6], s[0:1], s9, v58, v[5:6]
	s_waitcnt lgkmcnt(0)
	v_lshrrev_b32_e32 v12, 16, v2
	v_mul_f16_sdwa v6, v72, v12 dst_sel:DWORD dst_unused:UNUSED_PAD src0_sel:WORD_1 src1_sel:DWORD
	v_fma_f16 v6, v72, v2, v6
	v_cvt_f32_f16_e32 v6, v6
	v_mov_b32_e32 v9, v5
	v_and_or_b32 v10, v11, s11, v10
	v_lshl_or_b32 v0, v10, 16, v0
	v_cvt_f64_f32_e32 v[5:6], v6
	v_mov_b32_e32 v10, s5
	v_add_co_u32_e32 v11, vcc, s4, v3
	v_mul_f64 v[5:6], v[5:6], s[2:3]
	v_addc_co_u32_e32 v10, vcc, v10, v4, vcc
	v_lshlrev_b64 v[3:4], 2, v[8:9]
	v_mul_f16_sdwa v2, v72, v2 dst_sel:DWORD dst_unused:UNUSED_PAD src0_sel:WORD_1 src1_sel:DWORD
	v_add_co_u32_e32 v3, vcc, v11, v3
	v_addc_co_u32_e32 v4, vcc, v10, v4, vcc
	global_store_dword v[3:4], v0, off
	v_and_or_b32 v0, v6, s6, v5
	v_cmp_ne_u32_e32 vcc, 0, v0
	v_cndmask_b32_e64 v0, 0, 1, vcc
	v_lshrrev_b32_e32 v5, 8, v6
	v_bfe_u32 v8, v6, 20, 11
	v_and_or_b32 v0, v5, s7, v0
	v_sub_u32_e32 v9, 0x3f1, v8
	v_or_b32_e32 v5, 0x1000, v0
	v_med3_i32 v9, v9, 0, 13
	v_lshrrev_b32_e32 v10, v9, v5
	v_lshlrev_b32_e32 v9, v9, v10
	v_cmp_ne_u32_e32 vcc, v9, v5
	v_fma_f16 v2, v72, v12, -v2
	v_cndmask_b32_e64 v5, 0, 1, vcc
	v_add_u32_e32 v11, 0xfffffc10, v8
	v_cvt_f32_f16_e32 v2, v2
	v_or_b32_e32 v5, v10, v5
	v_lshl_or_b32 v8, v11, 12, v0
	v_cmp_gt_i32_e32 vcc, 1, v11
	v_cndmask_b32_e32 v5, v8, v5, vcc
	v_and_b32_e32 v8, 7, v5
	v_cmp_lt_i32_e32 vcc, 5, v8
	v_cmp_eq_u32_e64 s[0:1], 3, v8
	v_cvt_f64_f32_e32 v[8:9], v2
	v_lshrrev_b32_e32 v5, 2, v5
	s_or_b64 vcc, s[0:1], vcc
	v_addc_co_u32_e32 v2, vcc, 0, v5, vcc
	v_mul_f64 v[9:10], v[8:9], s[2:3]
	v_cmp_gt_i32_e32 vcc, 31, v11
	v_cndmask_b32_e32 v2, v16, v2, vcc
	v_cmp_ne_u32_e32 vcc, 0, v0
	v_cndmask_b32_e64 v0, 0, 1, vcc
	v_lshl_or_b32 v0, v0, 9, v16
	v_cmp_eq_u32_e32 vcc, s10, v11
	v_cndmask_b32_e32 v0, v2, v0, vcc
	v_lshrrev_b32_e32 v2, 16, v6
	v_and_or_b32 v0, v2, s11, v0
	v_and_or_b32 v2, v10, s6, v9
	v_cmp_ne_u32_e32 vcc, 0, v2
	v_cndmask_b32_e64 v2, 0, 1, vcc
	v_lshrrev_b32_e32 v5, 8, v10
	v_bfe_u32 v6, v10, 20, 11
	v_and_or_b32 v2, v5, s7, v2
	v_sub_u32_e32 v8, 0x3f1, v6
	v_or_b32_e32 v5, 0x1000, v2
	v_med3_i32 v8, v8, 0, 13
	v_lshrrev_b32_e32 v9, v8, v5
	v_lshlrev_b32_e32 v8, v8, v9
	v_cmp_ne_u32_e32 vcc, v8, v5
	v_cndmask_b32_e64 v5, 0, 1, vcc
	v_add_u32_e32 v6, 0xfffffc10, v6
	v_or_b32_e32 v5, v9, v5
	v_lshl_or_b32 v8, v6, 12, v2
	v_cmp_gt_i32_e32 vcc, 1, v6
	v_cndmask_b32_e32 v5, v8, v5, vcc
	v_and_b32_e32 v8, 7, v5
	v_cmp_lt_i32_e32 vcc, 5, v8
	v_cmp_eq_u32_e64 s[0:1], 3, v8
	ds_read2st64_b32 v[8:9], v48 offset0:12 offset1:14
	v_lshrrev_b32_e32 v5, 2, v5
	s_or_b64 vcc, s[0:1], vcc
	v_addc_co_u32_e32 v5, vcc, 0, v5, vcc
	v_cmp_gt_i32_e32 vcc, 31, v6
	v_cndmask_b32_e32 v5, v16, v5, vcc
	v_cmp_ne_u32_e32 vcc, 0, v2
	s_waitcnt lgkmcnt(0)
	v_lshrrev_b32_e32 v12, 16, v8
	v_cndmask_b32_e64 v2, 0, 1, vcc
	v_cmp_eq_u32_e32 vcc, s10, v6
	v_mul_f16_sdwa v6, v71, v12 dst_sel:DWORD dst_unused:UNUSED_PAD src0_sel:WORD_1 src1_sel:DWORD
	v_fma_f16 v6, v71, v8, v6
	v_cvt_f32_f16_e32 v6, v6
	v_lshl_or_b32 v2, v2, 9, v16
	v_cndmask_b32_e32 v2, v5, v2, vcc
	v_lshrrev_b32_e32 v5, 16, v10
	v_and_or_b32 v2, v5, s11, v2
	v_cvt_f64_f32_e32 v[5:6], v6
	s_mul_i32 s0, s9, 0x600
	s_mul_hi_u32 s4, s8, 0x600
	v_and_b32_e32 v0, 0xffff, v0
	v_mul_f64 v[5:6], v[5:6], s[2:3]
	s_add_i32 s4, s4, s0
	s_mul_i32 s5, s8, 0x600
	v_lshl_or_b32 v0, v2, 16, v0
	v_mov_b32_e32 v2, s4
	v_add_co_u32_e32 v10, vcc, s5, v3
	v_addc_co_u32_e32 v11, vcc, v4, v2, vcc
	global_store_dword v[10:11], v0, off
	v_and_or_b32 v0, v6, s6, v5
	v_cmp_ne_u32_e32 vcc, 0, v0
	v_cndmask_b32_e64 v0, 0, 1, vcc
	v_lshrrev_b32_e32 v2, 8, v6
	v_bfe_u32 v3, v6, 20, 11
	v_and_or_b32 v0, v2, s7, v0
	v_sub_u32_e32 v4, 0x3f1, v3
	v_or_b32_e32 v2, 0x1000, v0
	v_med3_i32 v4, v4, 0, 13
	v_lshrrev_b32_e32 v5, v4, v2
	v_lshlrev_b32_e32 v4, v4, v5
	v_cmp_ne_u32_e32 vcc, v4, v2
	v_mul_f16_sdwa v4, v71, v8 dst_sel:DWORD dst_unused:UNUSED_PAD src0_sel:WORD_1 src1_sel:DWORD
	v_cndmask_b32_e64 v2, 0, 1, vcc
	v_fma_f16 v4, v71, v12, -v4
	v_or_b32_e32 v2, v5, v2
	v_add_u32_e32 v5, 0xfffffc10, v3
	v_cvt_f32_f16_e32 v4, v4
	v_lshl_or_b32 v3, v5, 12, v0
	v_cmp_gt_i32_e32 vcc, 1, v5
	v_cndmask_b32_e32 v2, v3, v2, vcc
	v_and_b32_e32 v3, 7, v2
	v_cmp_lt_i32_e32 vcc, 5, v3
	v_cmp_eq_u32_e64 s[0:1], 3, v3
	v_lshrrev_b32_e32 v8, 2, v2
	v_cvt_f64_f32_e32 v[2:3], v4
	s_or_b64 vcc, s[0:1], vcc
	v_addc_co_u32_e32 v4, vcc, 0, v8, vcc
	v_cmp_gt_i32_e32 vcc, 31, v5
	v_cndmask_b32_e32 v8, v16, v4, vcc
	v_mul_f64 v[3:4], v[2:3], s[2:3]
	v_cmp_ne_u32_e32 vcc, 0, v0
	v_cndmask_b32_e64 v0, 0, 1, vcc
	v_lshl_or_b32 v0, v0, 9, v16
	v_cmp_eq_u32_e32 vcc, s10, v5
	v_cndmask_b32_e32 v0, v8, v0, vcc
	v_lshrrev_b32_e32 v2, 16, v6
	v_and_or_b32 v0, v2, s11, v0
	v_and_or_b32 v2, v4, s6, v3
	v_cmp_ne_u32_e32 vcc, 0, v2
	v_cndmask_b32_e64 v2, 0, 1, vcc
	v_lshrrev_b32_e32 v3, 8, v4
	v_and_or_b32 v5, v3, s7, v2
	v_bfe_u32 v3, v4, 20, 11
	v_sub_u32_e32 v6, 0x3f1, v3
	v_or_b32_e32 v2, 0x1000, v5
	v_med3_i32 v6, v6, 0, 13
	v_lshrrev_b32_e32 v8, v6, v2
	v_lshlrev_b32_e32 v6, v6, v8
	v_cmp_ne_u32_e32 vcc, v6, v2
	v_cndmask_b32_e64 v2, 0, 1, vcc
	v_add_u32_e32 v6, 0xfffffc10, v3
	v_or_b32_e32 v2, v8, v2
	v_lshl_or_b32 v3, v6, 12, v5
	v_cmp_gt_i32_e32 vcc, 1, v6
	v_cndmask_b32_e32 v2, v3, v2, vcc
	v_and_b32_e32 v3, 7, v2
	v_cmp_lt_i32_e32 vcc, 5, v3
	v_cmp_eq_u32_e64 s[0:1], 3, v3
	v_lshrrev_b32_e32 v2, 2, v2
	s_or_b64 vcc, s[0:1], vcc
	v_addc_co_u32_e32 v8, vcc, 0, v2, vcc
	ds_read2st64_b32 v[2:3], v48 offset0:16 offset1:18
	v_cmp_gt_i32_e32 vcc, 31, v6
	v_cndmask_b32_e32 v8, v16, v8, vcc
	v_cmp_ne_u32_e32 vcc, 0, v5
	v_cndmask_b32_e64 v5, 0, 1, vcc
	s_waitcnt lgkmcnt(0)
	v_lshrrev_b32_e32 v14, 16, v3
	v_mul_f16_sdwa v12, v70, v14 dst_sel:DWORD dst_unused:UNUSED_PAD src0_sel:WORD_1 src1_sel:DWORD
	v_fma_f16 v12, v70, v3, v12
	v_cvt_f32_f16_e32 v12, v12
	v_lshl_or_b32 v5, v5, 9, v16
	v_cmp_eq_u32_e32 vcc, s10, v6
	v_cndmask_b32_e32 v8, v8, v5, vcc
	v_cvt_f64_f32_e32 v[5:6], v12
	v_lshrrev_b32_e32 v4, 16, v4
	v_and_or_b32 v8, v4, s11, v8
	v_and_b32_e32 v0, 0xffff, v0
	v_mul_f64 v[4:5], v[5:6], s[2:3]
	v_mov_b32_e32 v6, s4
	v_add_co_u32_e32 v12, vcc, s5, v10
	v_lshl_or_b32 v0, v8, 16, v0
	v_addc_co_u32_e32 v13, vcc, v11, v6, vcc
	global_store_dword v[12:13], v0, off
	v_and_or_b32 v0, v5, s6, v4
	v_cmp_ne_u32_e32 vcc, 0, v0
	v_cndmask_b32_e64 v0, 0, 1, vcc
	v_lshrrev_b32_e32 v4, 8, v5
	v_bfe_u32 v6, v5, 20, 11
	v_and_or_b32 v0, v4, s7, v0
	v_sub_u32_e32 v8, 0x3f1, v6
	v_or_b32_e32 v4, 0x1000, v0
	v_med3_i32 v8, v8, 0, 13
	v_lshrrev_b32_e32 v10, v8, v4
	v_lshlrev_b32_e32 v8, v8, v10
	v_mul_f16_sdwa v3, v70, v3 dst_sel:DWORD dst_unused:UNUSED_PAD src0_sel:WORD_1 src1_sel:DWORD
	v_cmp_ne_u32_e32 vcc, v8, v4
	v_fma_f16 v3, v70, v14, -v3
	v_cndmask_b32_e64 v4, 0, 1, vcc
	v_add_u32_e32 v6, 0xfffffc10, v6
	v_cvt_f32_f16_e32 v3, v3
	v_or_b32_e32 v4, v10, v4
	v_lshl_or_b32 v8, v6, 12, v0
	v_cmp_gt_i32_e32 vcc, 1, v6
	v_cndmask_b32_e32 v4, v8, v4, vcc
	v_and_b32_e32 v8, 7, v4
	v_cmp_lt_i32_e32 vcc, 5, v8
	v_cmp_eq_u32_e64 s[0:1], 3, v8
	v_lshrrev_b32_e32 v8, 2, v4
	v_cvt_f64_f32_e32 v[3:4], v3
	s_or_b64 vcc, s[0:1], vcc
	v_addc_co_u32_e32 v8, vcc, 0, v8, vcc
	v_mul_f64 v[3:4], v[3:4], s[2:3]
	v_cmp_gt_i32_e32 vcc, 31, v6
	v_cndmask_b32_e32 v8, v16, v8, vcc
	v_cmp_ne_u32_e32 vcc, 0, v0
	v_cndmask_b32_e64 v0, 0, 1, vcc
	v_lshl_or_b32 v0, v0, 9, v16
	v_cmp_eq_u32_e32 vcc, s10, v6
	v_cndmask_b32_e32 v0, v8, v0, vcc
	v_and_or_b32 v3, v4, s6, v3
	v_lshrrev_b32_e32 v5, 16, v5
	v_cmp_ne_u32_e32 vcc, 0, v3
	v_and_or_b32 v0, v5, s11, v0
	v_cndmask_b32_e64 v3, 0, 1, vcc
	v_lshrrev_b32_e32 v5, 8, v4
	v_bfe_u32 v6, v4, 20, 11
	v_and_or_b32 v3, v5, s7, v3
	v_sub_u32_e32 v8, 0x3f1, v6
	v_or_b32_e32 v5, 0x1000, v3
	v_med3_i32 v8, v8, 0, 13
	v_lshrrev_b32_e32 v10, v8, v5
	v_lshlrev_b32_e32 v8, v8, v10
	v_cmp_ne_u32_e32 vcc, v8, v5
	v_cndmask_b32_e64 v5, 0, 1, vcc
	v_or_b32_e32 v5, v10, v5
	ds_read2st64_b32 v[10:11], v48 offset0:24 offset1:26
	v_add_u32_e32 v6, 0xfffffc10, v6
	v_lshl_or_b32 v8, v6, 12, v3
	v_cmp_gt_i32_e32 vcc, 1, v6
	v_cndmask_b32_e32 v5, v8, v5, vcc
	v_and_b32_e32 v8, 7, v5
	v_cmp_lt_i32_e32 vcc, 5, v8
	v_cmp_eq_u32_e64 s[0:1], 3, v8
	s_waitcnt lgkmcnt(0)
	v_lshrrev_b32_e32 v8, 16, v10
	v_lshrrev_b32_e32 v5, 2, v5
	s_or_b64 vcc, s[0:1], vcc
	v_mul_f16_sdwa v14, v68, v8 dst_sel:DWORD dst_unused:UNUSED_PAD src0_sel:WORD_1 src1_sel:DWORD
	v_addc_co_u32_e32 v5, vcc, 0, v5, vcc
	v_fma_f16 v14, v68, v10, v14
	v_cmp_gt_i32_e32 vcc, 31, v6
	v_cvt_f32_f16_e32 v14, v14
	v_cndmask_b32_e32 v5, v16, v5, vcc
	v_cmp_ne_u32_e32 vcc, 0, v3
	v_cndmask_b32_e64 v3, 0, 1, vcc
	v_lshl_or_b32 v3, v3, 9, v16
	v_cmp_eq_u32_e32 vcc, s10, v6
	v_cndmask_b32_e32 v3, v5, v3, vcc
	v_cvt_f64_f32_e32 v[5:6], v14
	v_lshrrev_b32_e32 v4, 16, v4
	v_and_or_b32 v14, v4, s11, v3
	v_and_b32_e32 v0, 0xffff, v0
	v_mul_f64 v[3:4], v[5:6], s[2:3]
	v_mov_b32_e32 v6, s4
	v_add_co_u32_e32 v5, vcc, s5, v12
	v_lshl_or_b32 v0, v14, 16, v0
	v_addc_co_u32_e32 v6, vcc, v13, v6, vcc
	global_store_dword v[5:6], v0, off
	v_and_or_b32 v0, v4, s6, v3
	v_cmp_ne_u32_e32 vcc, 0, v0
	v_cndmask_b32_e64 v0, 0, 1, vcc
	v_lshrrev_b32_e32 v3, 8, v4
	v_bfe_u32 v12, v4, 20, 11
	v_and_or_b32 v0, v3, s7, v0
	v_sub_u32_e32 v13, 0x3f1, v12
	v_or_b32_e32 v3, 0x1000, v0
	v_med3_i32 v13, v13, 0, 13
	v_lshrrev_b32_e32 v14, v13, v3
	v_lshlrev_b32_e32 v13, v13, v14
	v_cmp_ne_u32_e32 vcc, v13, v3
	v_mul_f16_sdwa v10, v68, v10 dst_sel:DWORD dst_unused:UNUSED_PAD src0_sel:WORD_1 src1_sel:DWORD
	v_cndmask_b32_e64 v3, 0, 1, vcc
	v_fma_f16 v8, v68, v8, -v10
	v_or_b32_e32 v3, v14, v3
	v_add_u32_e32 v14, 0xfffffc10, v12
	v_cvt_f32_f16_e32 v8, v8
	v_lshl_or_b32 v12, v14, 12, v0
	v_cmp_gt_i32_e32 vcc, 1, v14
	v_cndmask_b32_e32 v3, v12, v3, vcc
	v_and_b32_e32 v12, 7, v3
	v_cmp_lt_i32_e32 vcc, 5, v12
	v_cmp_eq_u32_e64 s[0:1], 3, v12
	v_cvt_f64_f32_e32 v[12:13], v8
	v_lshrrev_b32_e32 v3, 2, v3
	s_or_b64 vcc, s[0:1], vcc
	v_addc_co_u32_e32 v3, vcc, 0, v3, vcc
	v_mul_f64 v[12:13], v[12:13], s[2:3]
	v_cmp_gt_i32_e32 vcc, 31, v14
	v_cndmask_b32_e32 v3, v16, v3, vcc
	v_cmp_ne_u32_e32 vcc, 0, v0
	v_cndmask_b32_e64 v0, 0, 1, vcc
	v_lshl_or_b32 v0, v0, 9, v16
	v_cmp_eq_u32_e32 vcc, s10, v14
	v_cndmask_b32_e32 v0, v3, v0, vcc
	v_lshrrev_b32_e32 v3, 16, v4
	v_and_or_b32 v0, v3, s11, v0
	v_and_or_b32 v3, v13, s6, v12
	v_cmp_ne_u32_e32 vcc, 0, v3
	v_cndmask_b32_e64 v3, 0, 1, vcc
	v_lshrrev_b32_e32 v4, 8, v13
	v_and_or_b32 v8, v4, s7, v3
	v_bfe_u32 v4, v13, 20, 11
	v_sub_u32_e32 v10, 0x3f1, v4
	v_or_b32_e32 v3, 0x1000, v8
	v_med3_i32 v10, v10, 0, 13
	v_lshrrev_b32_e32 v12, v10, v3
	v_lshlrev_b32_e32 v10, v10, v12
	v_cmp_ne_u32_e32 vcc, v10, v3
	v_cndmask_b32_e64 v3, 0, 1, vcc
	v_add_u32_e32 v10, 0xfffffc10, v4
	v_or_b32_e32 v3, v12, v3
	v_lshl_or_b32 v4, v10, 12, v8
	v_cmp_gt_i32_e32 vcc, 1, v10
	v_cndmask_b32_e32 v3, v4, v3, vcc
	v_and_b32_e32 v4, 7, v3
	v_cmp_lt_i32_e32 vcc, 5, v4
	v_cmp_eq_u32_e64 s[0:1], 3, v4
	v_lshrrev_b32_e32 v3, 2, v3
	s_or_b64 vcc, s[0:1], vcc
	v_addc_co_u32_e32 v12, vcc, 0, v3, vcc
	ds_read2st64_b32 v[3:4], v48 offset0:28 offset1:30
	v_cmp_gt_i32_e32 vcc, 31, v10
	v_cndmask_b32_e32 v12, v16, v12, vcc
	v_cmp_ne_u32_e32 vcc, 0, v8
	v_cndmask_b32_e64 v8, 0, 1, vcc
	s_waitcnt lgkmcnt(0)
	v_lshrrev_b32_e32 v17, 16, v4
	v_mul_f16_sdwa v14, v66, v17 dst_sel:DWORD dst_unused:UNUSED_PAD src0_sel:WORD_1 src1_sel:DWORD
	v_fma_f16 v14, v66, v4, v14
	v_cvt_f32_f16_e32 v14, v14
	v_lshl_or_b32 v8, v8, 9, v16
	v_cmp_eq_u32_e32 vcc, s10, v10
	v_cndmask_b32_e32 v8, v12, v8, vcc
	v_cvt_f64_f32_e32 v[14:15], v14
	v_lshrrev_b32_e32 v10, 16, v13
	v_and_or_b32 v8, v10, s11, v8
	v_and_b32_e32 v0, 0xffff, v0
	v_mul_f64 v[12:13], v[14:15], s[2:3]
	v_lshl_or_b32 v0, v8, 16, v0
	v_mov_b32_e32 v8, s4
	v_add_co_u32_e32 v5, vcc, s5, v5
	v_addc_co_u32_e32 v6, vcc, v6, v8, vcc
	global_store_dword v[5:6], v0, off
	v_and_or_b32 v0, v13, s6, v12
	v_cmp_ne_u32_e32 vcc, 0, v0
	v_cndmask_b32_e64 v0, 0, 1, vcc
	v_lshrrev_b32_e32 v8, 8, v13
	v_bfe_u32 v10, v13, 20, 11
	v_and_or_b32 v0, v8, s7, v0
	v_sub_u32_e32 v12, 0x3f1, v10
	v_mul_f16_sdwa v4, v66, v4 dst_sel:DWORD dst_unused:UNUSED_PAD src0_sel:WORD_1 src1_sel:DWORD
	v_or_b32_e32 v8, 0x1000, v0
	v_med3_i32 v12, v12, 0, 13
	v_fma_f16 v4, v66, v17, -v4
	v_lshrrev_b32_e32 v14, v12, v8
	v_cvt_f32_f16_e32 v4, v4
	v_lshlrev_b32_e32 v12, v12, v14
	v_cmp_ne_u32_e32 vcc, v12, v8
	v_cndmask_b32_e64 v8, 0, 1, vcc
	v_or_b32_e32 v8, v14, v8
	v_add_u32_e32 v10, 0xfffffc10, v10
	v_cvt_f64_f32_e32 v[14:15], v4
	v_lshl_or_b32 v12, v10, 12, v0
	v_cmp_gt_i32_e32 vcc, 1, v10
	v_cndmask_b32_e32 v8, v12, v8, vcc
	v_and_b32_e32 v12, 7, v8
	v_cmp_lt_i32_e32 vcc, 5, v12
	v_cmp_eq_u32_e64 s[0:1], 3, v12
	v_mul_f64 v[14:15], v[14:15], s[2:3]
	v_lshrrev_b32_e32 v8, 2, v8
	s_or_b64 vcc, s[0:1], vcc
	v_addc_co_u32_e32 v4, vcc, 0, v8, vcc
	v_cmp_gt_i32_e32 vcc, 31, v10
	v_cndmask_b32_e32 v4, v16, v4, vcc
	v_cmp_ne_u32_e32 vcc, 0, v0
	v_cndmask_b32_e64 v0, 0, 1, vcc
	v_lshl_or_b32 v0, v0, 9, v16
	v_cmp_eq_u32_e32 vcc, s10, v10
	v_cndmask_b32_e32 v0, v4, v0, vcc
	v_lshrrev_b32_e32 v4, 16, v13
	v_and_or_b32 v0, v4, s11, v0
	v_and_or_b32 v4, v15, s6, v14
	v_cmp_ne_u32_e32 vcc, 0, v4
	v_cndmask_b32_e64 v4, 0, 1, vcc
	v_lshrrev_b32_e32 v8, 8, v15
	v_bfe_u32 v10, v15, 20, 11
	v_and_or_b32 v4, v8, s7, v4
	v_sub_u32_e32 v12, 0x3f1, v10
	v_or_b32_e32 v8, 0x1000, v4
	v_med3_i32 v12, v12, 0, 13
	v_lshrrev_b32_e32 v13, v12, v8
	v_lshlrev_b32_e32 v12, v12, v13
	v_cmp_ne_u32_e32 vcc, v12, v8
	v_cndmask_b32_e64 v8, 0, 1, vcc
	v_add_u32_e32 v10, 0xfffffc10, v10
	v_or_b32_e32 v8, v13, v8
	v_lshl_or_b32 v12, v10, 12, v4
	v_cmp_gt_i32_e32 vcc, 1, v10
	v_cndmask_b32_e32 v8, v12, v8, vcc
	v_and_b32_e32 v12, 7, v8
	v_cmp_lt_i32_e32 vcc, 5, v12
	v_cmp_eq_u32_e64 s[0:1], 3, v12
	ds_read2st64_b32 v[12:13], v48 offset0:36 offset1:38
	v_lshrrev_b32_e32 v8, 2, v8
	s_or_b64 vcc, s[0:1], vcc
	v_addc_co_u32_e32 v8, vcc, 0, v8, vcc
	s_waitcnt lgkmcnt(0)
	v_lshrrev_b32_e32 v19, 16, v12
	v_mul_f16_sdwa v14, v69, v19 dst_sel:DWORD dst_unused:UNUSED_PAD src0_sel:WORD_1 src1_sel:DWORD
	v_fma_f16 v14, v69, v12, v14
	v_cvt_f32_f16_e32 v14, v14
	v_cmp_gt_i32_e32 vcc, 31, v10
	v_cndmask_b32_e32 v8, v16, v8, vcc
	v_cmp_ne_u32_e32 vcc, 0, v4
	v_cvt_f64_f32_e32 v[17:18], v14
	v_cndmask_b32_e64 v4, 0, 1, vcc
	v_lshl_or_b32 v4, v4, 9, v16
	v_cmp_eq_u32_e32 vcc, s10, v10
	v_cndmask_b32_e32 v4, v8, v4, vcc
	v_lshrrev_b32_e32 v8, 16, v15
	v_mul_f64 v[14:15], v[17:18], s[2:3]
	v_and_or_b32 v4, v8, s11, v4
	v_and_b32_e32 v0, 0xffff, v0
	v_lshl_or_b32 v0, v4, 16, v0
	v_mov_b32_e32 v4, s4
	v_add_co_u32_e32 v17, vcc, s5, v5
	v_addc_co_u32_e32 v18, vcc, v6, v4, vcc
	global_store_dword v[17:18], v0, off
	v_and_or_b32 v0, v15, s6, v14
	v_cmp_ne_u32_e32 vcc, 0, v0
	v_cndmask_b32_e64 v0, 0, 1, vcc
	v_lshrrev_b32_e32 v4, 8, v15
	v_bfe_u32 v5, v15, 20, 11
	v_and_or_b32 v0, v4, s7, v0
	v_sub_u32_e32 v6, 0x3f1, v5
	v_or_b32_e32 v4, 0x1000, v0
	v_med3_i32 v6, v6, 0, 13
	v_lshrrev_b32_e32 v8, v6, v4
	v_lshlrev_b32_e32 v6, v6, v8
	v_cmp_ne_u32_e32 vcc, v6, v4
	v_mul_f16_sdwa v6, v69, v12 dst_sel:DWORD dst_unused:UNUSED_PAD src0_sel:WORD_1 src1_sel:DWORD
	v_cndmask_b32_e64 v4, 0, 1, vcc
	v_fma_f16 v6, v69, v19, -v6
	v_or_b32_e32 v4, v8, v4
	v_add_u32_e32 v8, 0xfffffc10, v5
	v_cvt_f32_f16_e32 v6, v6
	v_lshl_or_b32 v5, v8, 12, v0
	v_cmp_gt_i32_e32 vcc, 1, v8
	v_cndmask_b32_e32 v4, v5, v4, vcc
	v_and_b32_e32 v5, 7, v4
	v_cmp_lt_i32_e32 vcc, 5, v5
	v_cmp_eq_u32_e64 s[0:1], 3, v5
	v_lshrrev_b32_e32 v10, 2, v4
	v_cvt_f64_f32_e32 v[4:5], v6
	s_or_b64 vcc, s[0:1], vcc
	v_addc_co_u32_e32 v6, vcc, 0, v10, vcc
	v_cmp_gt_i32_e32 vcc, 31, v8
	v_cndmask_b32_e32 v10, v16, v6, vcc
	v_mul_f64 v[5:6], v[4:5], s[2:3]
	v_cmp_ne_u32_e32 vcc, 0, v0
	v_cndmask_b32_e64 v0, 0, 1, vcc
	v_lshl_or_b32 v0, v0, 9, v16
	v_cmp_eq_u32_e32 vcc, s10, v8
	v_cndmask_b32_e32 v0, v10, v0, vcc
	v_lshrrev_b32_e32 v4, 16, v15
	v_and_or_b32 v0, v4, s11, v0
	v_and_or_b32 v4, v6, s6, v5
	v_cmp_ne_u32_e32 vcc, 0, v4
	v_cndmask_b32_e64 v4, 0, 1, vcc
	v_lshrrev_b32_e32 v5, 8, v6
	v_and_or_b32 v8, v5, s7, v4
	v_bfe_u32 v5, v6, 20, 11
	v_sub_u32_e32 v10, 0x3f1, v5
	v_or_b32_e32 v4, 0x1000, v8
	v_med3_i32 v10, v10, 0, 13
	v_lshrrev_b32_e32 v12, v10, v4
	v_lshlrev_b32_e32 v10, v10, v12
	v_cmp_ne_u32_e32 vcc, v10, v4
	v_cndmask_b32_e64 v4, 0, 1, vcc
	v_add_u32_e32 v10, 0xfffffc10, v5
	v_or_b32_e32 v4, v12, v4
	v_lshl_or_b32 v5, v10, 12, v8
	v_cmp_gt_i32_e32 vcc, 1, v10
	v_cndmask_b32_e32 v4, v5, v4, vcc
	v_and_b32_e32 v5, 7, v4
	v_cmp_lt_i32_e32 vcc, 5, v5
	v_cmp_eq_u32_e64 s[0:1], 3, v5
	v_lshrrev_b32_e32 v4, 2, v4
	s_or_b64 vcc, s[0:1], vcc
	v_addc_co_u32_e32 v12, vcc, 0, v4, vcc
	ds_read2st64_b32 v[4:5], v48 offset0:40 offset1:42
	v_cmp_gt_i32_e32 vcc, 31, v10
	v_cndmask_b32_e32 v12, v16, v12, vcc
	v_cmp_ne_u32_e32 vcc, 0, v8
	v_cndmask_b32_e64 v8, 0, 1, vcc
	s_waitcnt lgkmcnt(0)
	v_lshrrev_b32_e32 v19, 16, v5
	v_mul_f16_sdwa v14, v67, v19 dst_sel:DWORD dst_unused:UNUSED_PAD src0_sel:WORD_1 src1_sel:DWORD
	v_fma_f16 v14, v67, v5, v14
	v_cvt_f32_f16_e32 v14, v14
	v_lshl_or_b32 v8, v8, 9, v16
	v_cmp_eq_u32_e32 vcc, s10, v10
	v_cndmask_b32_e32 v8, v12, v8, vcc
	v_cvt_f64_f32_e32 v[14:15], v14
	v_lshrrev_b32_e32 v6, 16, v6
	v_and_or_b32 v6, v6, s11, v8
	v_and_b32_e32 v0, 0xffff, v0
	v_mul_f64 v[14:15], v[14:15], s[2:3]
	v_lshl_or_b32 v0, v6, 16, v0
	v_mov_b32_e32 v6, s4
	v_add_co_u32_e32 v17, vcc, s5, v17
	v_addc_co_u32_e32 v18, vcc, v18, v6, vcc
	global_store_dword v[17:18], v0, off
	v_and_or_b32 v0, v15, s6, v14
	v_cmp_ne_u32_e32 vcc, 0, v0
	v_cndmask_b32_e64 v0, 0, 1, vcc
	v_lshrrev_b32_e32 v6, 8, v15
	v_bfe_u32 v8, v15, 20, 11
	v_and_or_b32 v0, v6, s7, v0
	v_sub_u32_e32 v10, 0x3f1, v8
	v_or_b32_e32 v6, 0x1000, v0
	v_med3_i32 v10, v10, 0, 13
	v_lshrrev_b32_e32 v12, v10, v6
	v_lshlrev_b32_e32 v10, v10, v12
	v_mul_f16_sdwa v5, v67, v5 dst_sel:DWORD dst_unused:UNUSED_PAD src0_sel:WORD_1 src1_sel:DWORD
	v_cmp_ne_u32_e32 vcc, v10, v6
	v_fma_f16 v5, v67, v19, -v5
	v_cndmask_b32_e64 v6, 0, 1, vcc
	v_add_u32_e32 v8, 0xfffffc10, v8
	v_cvt_f32_f16_e32 v5, v5
	v_or_b32_e32 v6, v12, v6
	v_lshl_or_b32 v10, v8, 12, v0
	v_cmp_gt_i32_e32 vcc, 1, v8
	v_cndmask_b32_e32 v6, v10, v6, vcc
	v_and_b32_e32 v10, 7, v6
	v_cmp_lt_i32_e32 vcc, 5, v10
	v_cmp_eq_u32_e64 s[0:1], 3, v10
	v_lshrrev_b32_e32 v10, 2, v6
	v_cvt_f64_f32_e32 v[5:6], v5
	s_or_b64 vcc, s[0:1], vcc
	v_addc_co_u32_e32 v10, vcc, 0, v10, vcc
	v_mul_f64 v[5:6], v[5:6], s[2:3]
	v_cmp_gt_i32_e32 vcc, 31, v8
	v_cndmask_b32_e32 v10, v16, v10, vcc
	v_cmp_ne_u32_e32 vcc, 0, v0
	v_cndmask_b32_e64 v0, 0, 1, vcc
	v_lshl_or_b32 v0, v0, 9, v16
	v_cmp_eq_u32_e32 vcc, s10, v8
	v_cndmask_b32_e32 v0, v10, v0, vcc
	v_and_or_b32 v5, v6, s6, v5
	v_lshrrev_b32_e32 v8, 16, v15
	v_cmp_ne_u32_e32 vcc, 0, v5
	v_and_or_b32 v0, v8, s11, v0
	v_cndmask_b32_e64 v5, 0, 1, vcc
	v_lshrrev_b32_e32 v8, 8, v6
	v_bfe_u32 v10, v6, 20, 11
	v_and_or_b32 v5, v8, s7, v5
	v_sub_u32_e32 v12, 0x3f1, v10
	v_or_b32_e32 v8, 0x1000, v5
	v_med3_i32 v12, v12, 0, 13
	v_lshrrev_b32_e32 v14, v12, v8
	v_lshlrev_b32_e32 v12, v12, v14
	v_cmp_ne_u32_e32 vcc, v12, v8
	v_cndmask_b32_e64 v8, 0, 1, vcc
	v_or_b32_e32 v8, v14, v8
	ds_read2st64_b32 v[14:15], v48 offset0:48 offset1:50
	v_add_u32_e32 v10, 0xfffffc10, v10
	v_lshl_or_b32 v12, v10, 12, v5
	v_cmp_gt_i32_e32 vcc, 1, v10
	v_cndmask_b32_e32 v8, v12, v8, vcc
	v_and_b32_e32 v12, 7, v8
	v_cmp_lt_i32_e32 vcc, 5, v12
	v_cmp_eq_u32_e64 s[0:1], 3, v12
	s_waitcnt lgkmcnt(0)
	v_lshrrev_b32_e32 v12, 16, v14
	v_mul_f16_sdwa v19, v65, v12 dst_sel:DWORD dst_unused:UNUSED_PAD src0_sel:WORD_1 src1_sel:DWORD
	v_fma_f16 v19, v65, v14, v19
	v_cvt_f32_f16_e32 v19, v19
	v_lshrrev_b32_e32 v8, 2, v8
	s_or_b64 vcc, s[0:1], vcc
	v_addc_co_u32_e32 v8, vcc, 0, v8, vcc
	v_cmp_gt_i32_e32 vcc, 31, v10
	v_cndmask_b32_e32 v8, v16, v8, vcc
	v_cmp_ne_u32_e32 vcc, 0, v5
	v_cvt_f64_f32_e32 v[19:20], v19
	v_cndmask_b32_e64 v5, 0, 1, vcc
	v_lshl_or_b32 v5, v5, 9, v16
	v_cmp_eq_u32_e32 vcc, s10, v10
	v_cndmask_b32_e32 v5, v8, v5, vcc
	v_lshrrev_b32_e32 v6, 16, v6
	v_and_or_b32 v8, v6, s11, v5
	v_mul_f64 v[5:6], v[19:20], s[2:3]
	v_and_b32_e32 v0, 0xffff, v0
	v_lshl_or_b32 v0, v8, 16, v0
	v_mov_b32_e32 v8, s4
	v_add_co_u32_e32 v17, vcc, s5, v17
	v_addc_co_u32_e32 v18, vcc, v18, v8, vcc
	global_store_dword v[17:18], v0, off
	v_and_or_b32 v0, v6, s6, v5
	v_cmp_ne_u32_e32 vcc, 0, v0
	v_cndmask_b32_e64 v0, 0, 1, vcc
	v_lshrrev_b32_e32 v5, 8, v6
	v_bfe_u32 v8, v6, 20, 11
	v_and_or_b32 v0, v5, s7, v0
	v_sub_u32_e32 v10, 0x3f1, v8
	v_mul_f16_sdwa v14, v65, v14 dst_sel:DWORD dst_unused:UNUSED_PAD src0_sel:WORD_1 src1_sel:DWORD
	v_or_b32_e32 v5, 0x1000, v0
	v_med3_i32 v10, v10, 0, 13
	v_fma_f16 v12, v65, v12, -v14
	v_lshrrev_b32_e32 v19, v10, v5
	v_cvt_f32_f16_e32 v12, v12
	v_lshlrev_b32_e32 v10, v10, v19
	v_cmp_ne_u32_e32 vcc, v10, v5
	v_cndmask_b32_e64 v5, 0, 1, vcc
	v_or_b32_e32 v5, v19, v5
	v_add_u32_e32 v8, 0xfffffc10, v8
	v_cvt_f64_f32_e32 v[19:20], v12
	v_lshl_or_b32 v10, v8, 12, v0
	v_cmp_gt_i32_e32 vcc, 1, v8
	v_cndmask_b32_e32 v5, v10, v5, vcc
	v_and_b32_e32 v10, 7, v5
	v_cmp_lt_i32_e32 vcc, 5, v10
	v_cmp_eq_u32_e64 s[0:1], 3, v10
	v_mul_f64 v[19:20], v[19:20], s[2:3]
	v_lshrrev_b32_e32 v5, 2, v5
	s_or_b64 vcc, s[0:1], vcc
	v_addc_co_u32_e32 v5, vcc, 0, v5, vcc
	v_cmp_gt_i32_e32 vcc, 31, v8
	v_cndmask_b32_e32 v5, v16, v5, vcc
	v_cmp_ne_u32_e32 vcc, 0, v0
	v_cndmask_b32_e64 v0, 0, 1, vcc
	v_lshl_or_b32 v0, v0, 9, v16
	v_cmp_eq_u32_e32 vcc, s10, v8
	v_cndmask_b32_e32 v0, v5, v0, vcc
	v_lshrrev_b32_e32 v5, 16, v6
	v_and_or_b32 v0, v5, s11, v0
	v_and_or_b32 v5, v20, s6, v19
	v_cmp_ne_u32_e32 vcc, 0, v5
	v_cndmask_b32_e64 v5, 0, 1, vcc
	v_lshrrev_b32_e32 v6, 8, v20
	v_and_or_b32 v8, v6, s7, v5
	v_bfe_u32 v6, v20, 20, 11
	v_sub_u32_e32 v10, 0x3f1, v6
	v_or_b32_e32 v5, 0x1000, v8
	v_med3_i32 v10, v10, 0, 13
	v_lshrrev_b32_e32 v12, v10, v5
	v_lshlrev_b32_e32 v10, v10, v12
	v_cmp_ne_u32_e32 vcc, v10, v5
	v_cndmask_b32_e64 v5, 0, 1, vcc
	v_add_u32_e32 v10, 0xfffffc10, v6
	v_or_b32_e32 v5, v12, v5
	v_lshl_or_b32 v6, v10, 12, v8
	v_cmp_gt_i32_e32 vcc, 1, v10
	v_cndmask_b32_e32 v5, v6, v5, vcc
	v_and_b32_e32 v6, 7, v5
	v_cmp_lt_i32_e32 vcc, 5, v6
	v_cmp_eq_u32_e64 s[0:1], 3, v6
	v_lshrrev_b32_e32 v5, 2, v5
	s_or_b64 vcc, s[0:1], vcc
	v_addc_co_u32_e32 v12, vcc, 0, v5, vcc
	ds_read2st64_b32 v[5:6], v48 offset0:52 offset1:54
	v_cmp_gt_i32_e32 vcc, 31, v10
	v_cndmask_b32_e32 v12, v16, v12, vcc
	v_cmp_ne_u32_e32 vcc, 0, v8
	v_cndmask_b32_e64 v8, 0, 1, vcc
	s_waitcnt lgkmcnt(0)
	v_lshrrev_b32_e32 v14, 16, v6
	v_mul_f16_sdwa v19, v64, v14 dst_sel:DWORD dst_unused:UNUSED_PAD src0_sel:WORD_1 src1_sel:DWORD
	v_fma_f16 v19, v64, v6, v19
	v_cvt_f32_f16_e32 v19, v19
	v_cmp_eq_u32_e32 vcc, s10, v10
	v_lshrrev_b32_e32 v10, 16, v20
	v_lshl_or_b32 v8, v8, 9, v16
	v_cvt_f64_f32_e32 v[21:22], v19
	v_cndmask_b32_e32 v8, v12, v8, vcc
	v_and_or_b32 v8, v10, s11, v8
	v_and_b32_e32 v0, 0xffff, v0
	v_mul_f64 v[19:20], v[21:22], s[2:3]
	v_lshl_or_b32 v0, v8, 16, v0
	v_mov_b32_e32 v8, s4
	v_add_co_u32_e32 v17, vcc, s5, v17
	v_addc_co_u32_e32 v18, vcc, v18, v8, vcc
	global_store_dword v[17:18], v0, off
	v_and_or_b32 v0, v20, s6, v19
	v_cmp_ne_u32_e32 vcc, 0, v0
	v_cndmask_b32_e64 v0, 0, 1, vcc
	v_lshrrev_b32_e32 v8, 8, v20
	v_bfe_u32 v10, v20, 20, 11
	v_mul_f16_sdwa v6, v64, v6 dst_sel:DWORD dst_unused:UNUSED_PAD src0_sel:WORD_1 src1_sel:DWORD
	v_and_or_b32 v0, v8, s7, v0
	v_sub_u32_e32 v12, 0x3f1, v10
	v_fma_f16 v6, v64, v14, -v6
	v_or_b32_e32 v8, 0x1000, v0
	v_med3_i32 v12, v12, 0, 13
	v_cvt_f32_f16_e32 v6, v6
	v_lshrrev_b32_e32 v19, v12, v8
	v_lshlrev_b32_e32 v12, v12, v19
	v_cmp_ne_u32_e32 vcc, v12, v8
	v_cndmask_b32_e64 v8, 0, 1, vcc
	v_add_u32_e32 v10, 0xfffffc10, v10
	v_cvt_f64_f32_e32 v[21:22], v6
	v_or_b32_e32 v8, v19, v8
	v_lshl_or_b32 v12, v10, 12, v0
	v_cmp_gt_i32_e32 vcc, 1, v10
	v_cndmask_b32_e32 v8, v12, v8, vcc
	v_and_b32_e32 v12, 7, v8
	v_cmp_lt_i32_e32 vcc, 5, v12
	v_cmp_eq_u32_e64 s[0:1], 3, v12
	v_mul_f64 v[21:22], v[21:22], s[2:3]
	v_lshrrev_b32_e32 v8, 2, v8
	s_or_b64 vcc, s[0:1], vcc
	v_addc_co_u32_e32 v6, vcc, 0, v8, vcc
	v_cmp_gt_i32_e32 vcc, 31, v10
	v_cndmask_b32_e32 v6, v16, v6, vcc
	v_cmp_ne_u32_e32 vcc, 0, v0
	v_cndmask_b32_e64 v0, 0, 1, vcc
	v_lshl_or_b32 v0, v0, 9, v16
	v_cmp_eq_u32_e32 vcc, s10, v10
	v_cndmask_b32_e32 v0, v6, v0, vcc
	v_lshrrev_b32_e32 v6, 16, v20
	v_and_or_b32 v0, v6, s11, v0
	v_and_or_b32 v6, v22, s6, v21
	v_cmp_ne_u32_e32 vcc, 0, v6
	v_cndmask_b32_e64 v6, 0, 1, vcc
	v_lshrrev_b32_e32 v8, 8, v22
	v_bfe_u32 v10, v22, 20, 11
	v_and_or_b32 v6, v8, s7, v6
	v_sub_u32_e32 v12, 0x3f1, v10
	v_or_b32_e32 v8, 0x1000, v6
	v_med3_i32 v12, v12, 0, 13
	v_lshrrev_b32_e32 v14, v12, v8
	v_lshlrev_b32_e32 v12, v12, v14
	v_cmp_ne_u32_e32 vcc, v12, v8
	v_cndmask_b32_e64 v8, 0, 1, vcc
	v_add_u32_e32 v10, 0xfffffc10, v10
	v_or_b32_e32 v8, v14, v8
	v_lshl_or_b32 v12, v10, 12, v6
	v_cmp_gt_i32_e32 vcc, 1, v10
	v_cndmask_b32_e32 v8, v12, v8, vcc
	v_and_b32_e32 v12, 7, v8
	v_cmp_lt_i32_e32 vcc, 5, v12
	v_cmp_eq_u32_e64 s[0:1], 3, v12
	v_lshrrev_b32_e32 v12, 16, v7
	v_mul_f16_sdwa v14, v63, v12 dst_sel:DWORD dst_unused:UNUSED_PAD src0_sel:WORD_1 src1_sel:DWORD
	v_fma_f16 v14, v63, v7, v14
	v_cvt_f32_f16_e32 v14, v14
	v_lshrrev_b32_e32 v8, 2, v8
	s_or_b64 vcc, s[0:1], vcc
	v_addc_co_u32_e32 v8, vcc, 0, v8, vcc
	v_cvt_f64_f32_e32 v[19:20], v14
	v_cmp_gt_i32_e32 vcc, 31, v10
	v_cndmask_b32_e32 v8, v16, v8, vcc
	v_cmp_ne_u32_e32 vcc, 0, v6
	v_mul_f64 v[19:20], v[19:20], s[2:3]
	v_cndmask_b32_e64 v6, 0, 1, vcc
	v_lshl_or_b32 v6, v6, 9, v16
	v_cmp_eq_u32_e32 vcc, s10, v10
	v_cndmask_b32_e32 v6, v8, v6, vcc
	v_lshrrev_b32_e32 v8, 16, v22
	v_and_or_b32 v6, v8, s11, v6
	v_and_b32_e32 v0, 0xffff, v0
	v_lshl_or_b32 v0, v6, 16, v0
	v_mov_b32_e32 v6, s4
	v_add_co_u32_e32 v17, vcc, s5, v17
	v_addc_co_u32_e32 v18, vcc, v18, v6, vcc
	global_store_dword v[17:18], v0, off
	v_and_or_b32 v0, v20, s6, v19
	v_cmp_ne_u32_e32 vcc, 0, v0
	v_cndmask_b32_e64 v0, 0, 1, vcc
	v_lshrrev_b32_e32 v6, 8, v20
	v_bfe_u32 v8, v20, 20, 11
	v_and_or_b32 v0, v6, s7, v0
	v_sub_u32_e32 v10, 0x3f1, v8
	v_or_b32_e32 v6, 0x1000, v0
	v_med3_i32 v10, v10, 0, 13
	v_lshrrev_b32_e32 v14, v10, v6
	v_lshlrev_b32_e32 v10, v10, v14
	v_mul_f16_sdwa v7, v63, v7 dst_sel:DWORD dst_unused:UNUSED_PAD src0_sel:WORD_1 src1_sel:DWORD
	v_cmp_ne_u32_e32 vcc, v10, v6
	v_fma_f16 v7, v63, v12, -v7
	v_cndmask_b32_e64 v6, 0, 1, vcc
	v_add_u32_e32 v10, 0xfffffc10, v8
	v_cvt_f32_f16_e32 v7, v7
	v_or_b32_e32 v6, v14, v6
	v_lshl_or_b32 v8, v10, 12, v0
	v_cmp_gt_i32_e32 vcc, 1, v10
	v_cndmask_b32_e32 v6, v8, v6, vcc
	v_and_b32_e32 v8, 7, v6
	v_cmp_lt_i32_e32 vcc, 5, v8
	v_cmp_eq_u32_e64 s[0:1], 3, v8
	v_lshrrev_b32_e32 v8, 2, v6
	v_cvt_f64_f32_e32 v[6:7], v7
	s_or_b64 vcc, s[0:1], vcc
	v_addc_co_u32_e32 v8, vcc, 0, v8, vcc
	v_cmp_gt_i32_e32 vcc, 31, v10
	v_cndmask_b32_e32 v12, v16, v8, vcc
	v_mul_f64 v[7:8], v[6:7], s[2:3]
	v_cmp_ne_u32_e32 vcc, 0, v0
	v_cndmask_b32_e64 v0, 0, 1, vcc
	v_lshl_or_b32 v0, v0, 9, v16
	v_cmp_eq_u32_e32 vcc, s10, v10
	v_cndmask_b32_e32 v0, v12, v0, vcc
	v_lshrrev_b32_e32 v6, 16, v20
	v_and_or_b32 v0, v6, s11, v0
	v_and_or_b32 v6, v8, s6, v7
	v_cmp_ne_u32_e32 vcc, 0, v6
	v_cndmask_b32_e64 v6, 0, 1, vcc
	v_lshrrev_b32_e32 v7, 8, v8
	v_and_or_b32 v10, v7, s7, v6
	v_bfe_u32 v7, v8, 20, 11
	v_sub_u32_e32 v12, 0x3f1, v7
	v_or_b32_e32 v6, 0x1000, v10
	v_med3_i32 v12, v12, 0, 13
	v_lshrrev_b32_e32 v14, v12, v6
	v_lshlrev_b32_e32 v12, v12, v14
	v_cmp_ne_u32_e32 vcc, v12, v6
	v_cndmask_b32_e64 v6, 0, 1, vcc
	v_add_u32_e32 v12, 0xfffffc10, v7
	v_or_b32_e32 v6, v14, v6
	v_lshl_or_b32 v7, v12, 12, v10
	v_cmp_gt_i32_e32 vcc, 1, v12
	v_cndmask_b32_e32 v6, v7, v6, vcc
	v_and_b32_e32 v7, 7, v6
	v_cmp_lt_i32_e32 vcc, 5, v7
	v_cmp_eq_u32_e64 s[0:1], 3, v7
	v_lshrrev_b32_e32 v6, 2, v6
	s_or_b64 vcc, s[0:1], vcc
	v_addc_co_u32_e32 v14, vcc, 0, v6, vcc
	ds_read2st64_b32 v[6:7], v48 offset0:8 offset1:10
	v_cmp_gt_i32_e32 vcc, 31, v12
	v_cndmask_b32_e32 v14, v16, v14, vcc
	v_cmp_ne_u32_e32 vcc, 0, v10
	v_cndmask_b32_e64 v10, 0, 1, vcc
	s_waitcnt lgkmcnt(0)
	v_lshrrev_b32_e32 v21, 16, v6
	v_mul_f16_sdwa v19, v62, v21 dst_sel:DWORD dst_unused:UNUSED_PAD src0_sel:WORD_1 src1_sel:DWORD
	v_fma_f16 v19, v62, v6, v19
	v_cvt_f32_f16_e32 v19, v19
	v_mad_u64_u32 v[17:18], s[0:1], s8, v23, v[17:18]
	v_lshl_or_b32 v10, v10, 9, v16
	v_cvt_f64_f32_e32 v[19:20], v19
	v_cmp_eq_u32_e32 vcc, s10, v12
	v_cndmask_b32_e32 v10, v14, v10, vcc
	v_lshrrev_b32_e32 v8, 16, v8
	v_mul_f64 v[19:20], v[19:20], s[2:3]
	s_mul_i32 s0, s9, 0xffffcc00
	v_and_or_b32 v8, v8, s11, v10
	v_and_b32_e32 v0, 0xffff, v0
	s_sub_i32 s9, s0, s8
	v_lshl_or_b32 v0, v8, 16, v0
	v_add_u32_e32 v18, s9, v18
	global_store_dword v[17:18], v0, off
	v_and_or_b32 v0, v20, s6, v19
	v_cmp_ne_u32_e32 vcc, 0, v0
	v_cndmask_b32_e64 v0, 0, 1, vcc
	v_lshrrev_b32_e32 v8, 8, v20
	v_bfe_u32 v10, v20, 20, 11
	v_mul_f16_sdwa v6, v62, v6 dst_sel:DWORD dst_unused:UNUSED_PAD src0_sel:WORD_1 src1_sel:DWORD
	v_and_or_b32 v0, v8, s7, v0
	v_sub_u32_e32 v12, 0x3f1, v10
	v_fma_f16 v6, v62, v21, -v6
	v_or_b32_e32 v8, 0x1000, v0
	v_med3_i32 v12, v12, 0, 13
	v_cvt_f32_f16_e32 v6, v6
	v_lshrrev_b32_e32 v14, v12, v8
	v_lshlrev_b32_e32 v12, v12, v14
	v_cmp_ne_u32_e32 vcc, v12, v8
	v_cndmask_b32_e64 v8, 0, 1, vcc
	v_add_u32_e32 v10, 0xfffffc10, v10
	v_cvt_f64_f32_e32 v[21:22], v6
	v_or_b32_e32 v8, v14, v8
	v_lshl_or_b32 v12, v10, 12, v0
	v_cmp_gt_i32_e32 vcc, 1, v10
	v_cndmask_b32_e32 v8, v12, v8, vcc
	v_and_b32_e32 v12, 7, v8
	v_cmp_lt_i32_e32 vcc, 5, v12
	v_cmp_eq_u32_e64 s[0:1], 3, v12
	v_mul_f64 v[21:22], v[21:22], s[2:3]
	v_lshrrev_b32_e32 v8, 2, v8
	s_or_b64 vcc, s[0:1], vcc
	v_addc_co_u32_e32 v6, vcc, 0, v8, vcc
	v_cmp_gt_i32_e32 vcc, 31, v10
	v_cndmask_b32_e32 v6, v16, v6, vcc
	v_cmp_ne_u32_e32 vcc, 0, v0
	v_cndmask_b32_e64 v0, 0, 1, vcc
	v_lshl_or_b32 v0, v0, 9, v16
	v_cmp_eq_u32_e32 vcc, s10, v10
	v_cndmask_b32_e32 v0, v6, v0, vcc
	v_lshrrev_b32_e32 v6, 16, v20
	v_and_or_b32 v0, v6, s11, v0
	v_and_or_b32 v6, v22, s6, v21
	v_cmp_ne_u32_e32 vcc, 0, v6
	v_cndmask_b32_e64 v6, 0, 1, vcc
	v_lshrrev_b32_e32 v8, 8, v22
	v_bfe_u32 v10, v22, 20, 11
	v_and_or_b32 v6, v8, s7, v6
	v_sub_u32_e32 v12, 0x3f1, v10
	v_or_b32_e32 v8, 0x1000, v6
	v_med3_i32 v12, v12, 0, 13
	v_lshrrev_b32_e32 v14, v12, v8
	v_lshlrev_b32_e32 v12, v12, v14
	v_cmp_ne_u32_e32 vcc, v12, v8
	v_cndmask_b32_e64 v8, 0, 1, vcc
	v_add_u32_e32 v10, 0xfffffc10, v10
	v_or_b32_e32 v8, v14, v8
	v_lshl_or_b32 v12, v10, 12, v6
	v_cmp_gt_i32_e32 vcc, 1, v10
	v_cndmask_b32_e32 v8, v12, v8, vcc
	v_and_b32_e32 v12, 7, v8
	v_cmp_lt_i32_e32 vcc, 5, v12
	v_cmp_eq_u32_e64 s[0:1], 3, v12
	v_lshrrev_b32_e32 v12, 16, v9
	v_mul_f16_sdwa v14, v60, v12 dst_sel:DWORD dst_unused:UNUSED_PAD src0_sel:WORD_1 src1_sel:DWORD
	v_fma_f16 v14, v60, v9, v14
	v_cvt_f32_f16_e32 v14, v14
	v_lshrrev_b32_e32 v8, 2, v8
	s_or_b64 vcc, s[0:1], vcc
	v_addc_co_u32_e32 v8, vcc, 0, v8, vcc
	v_cvt_f64_f32_e32 v[19:20], v14
	v_cmp_gt_i32_e32 vcc, 31, v10
	v_cndmask_b32_e32 v8, v16, v8, vcc
	v_cmp_ne_u32_e32 vcc, 0, v6
	v_mul_f64 v[19:20], v[19:20], s[2:3]
	v_cndmask_b32_e64 v6, 0, 1, vcc
	v_lshl_or_b32 v6, v6, 9, v16
	v_cmp_eq_u32_e32 vcc, s10, v10
	v_cndmask_b32_e32 v6, v8, v6, vcc
	v_lshrrev_b32_e32 v8, 16, v22
	v_and_or_b32 v6, v8, s11, v6
	v_and_b32_e32 v0, 0xffff, v0
	v_lshl_or_b32 v0, v6, 16, v0
	v_mov_b32_e32 v6, s4
	v_add_co_u32_e32 v17, vcc, s5, v17
	v_addc_co_u32_e32 v18, vcc, v18, v6, vcc
	global_store_dword v[17:18], v0, off
	v_and_or_b32 v0, v20, s6, v19
	v_cmp_ne_u32_e32 vcc, 0, v0
	v_cndmask_b32_e64 v0, 0, 1, vcc
	v_lshrrev_b32_e32 v6, 8, v20
	v_bfe_u32 v8, v20, 20, 11
	v_and_or_b32 v0, v6, s7, v0
	v_sub_u32_e32 v10, 0x3f1, v8
	v_or_b32_e32 v6, 0x1000, v0
	v_med3_i32 v10, v10, 0, 13
	v_lshrrev_b32_e32 v14, v10, v6
	v_lshlrev_b32_e32 v10, v10, v14
	v_cmp_ne_u32_e32 vcc, v10, v6
	v_mul_f16_sdwa v9, v60, v9 dst_sel:DWORD dst_unused:UNUSED_PAD src0_sel:WORD_1 src1_sel:DWORD
	v_cndmask_b32_e64 v6, 0, 1, vcc
	v_fma_f16 v9, v60, v12, -v9
	v_or_b32_e32 v6, v14, v6
	v_add_u32_e32 v14, 0xfffffc10, v8
	v_cvt_f32_f16_e32 v9, v9
	v_lshl_or_b32 v8, v14, 12, v0
	v_cmp_gt_i32_e32 vcc, 1, v14
	v_cndmask_b32_e32 v6, v8, v6, vcc
	v_and_b32_e32 v8, 7, v6
	v_cmp_lt_i32_e32 vcc, 5, v8
	v_cmp_eq_u32_e64 s[0:1], 3, v8
	v_cvt_f64_f32_e32 v[8:9], v9
	v_lshrrev_b32_e32 v6, 2, v6
	s_or_b64 vcc, s[0:1], vcc
	v_addc_co_u32_e32 v6, vcc, 0, v6, vcc
	v_mul_f64 v[9:10], v[8:9], s[2:3]
	v_cmp_gt_i32_e32 vcc, 31, v14
	v_cndmask_b32_e32 v6, v16, v6, vcc
	v_cmp_ne_u32_e32 vcc, 0, v0
	v_cndmask_b32_e64 v0, 0, 1, vcc
	v_lshl_or_b32 v0, v0, 9, v16
	v_cmp_eq_u32_e32 vcc, s10, v14
	v_cndmask_b32_e32 v0, v6, v0, vcc
	v_lshrrev_b32_e32 v6, 16, v20
	v_and_or_b32 v0, v6, s11, v0
	v_and_or_b32 v6, v10, s6, v9
	v_cmp_ne_u32_e32 vcc, 0, v6
	v_cndmask_b32_e64 v6, 0, 1, vcc
	v_lshrrev_b32_e32 v8, 8, v10
	v_bfe_u32 v9, v10, 20, 11
	v_and_or_b32 v6, v8, s7, v6
	v_sub_u32_e32 v12, 0x3f1, v9
	v_or_b32_e32 v8, 0x1000, v6
	v_med3_i32 v12, v12, 0, 13
	v_lshrrev_b32_e32 v14, v12, v8
	v_lshlrev_b32_e32 v12, v12, v14
	v_cmp_ne_u32_e32 vcc, v12, v8
	v_cndmask_b32_e64 v8, 0, 1, vcc
	v_add_u32_e32 v12, 0xfffffc10, v9
	v_or_b32_e32 v8, v14, v8
	v_lshl_or_b32 v9, v12, 12, v6
	v_cmp_gt_i32_e32 vcc, 1, v12
	v_cndmask_b32_e32 v8, v9, v8, vcc
	v_and_b32_e32 v9, 7, v8
	v_cmp_lt_i32_e32 vcc, 5, v9
	v_cmp_eq_u32_e64 s[0:1], 3, v9
	v_lshrrev_b32_e32 v8, 2, v8
	s_or_b64 vcc, s[0:1], vcc
	v_addc_co_u32_e32 v14, vcc, 0, v8, vcc
	ds_read2st64_b32 v[8:9], v48 offset0:20 offset1:22
	v_cmp_gt_i32_e32 vcc, 31, v12
	v_cndmask_b32_e32 v14, v16, v14, vcc
	v_cmp_ne_u32_e32 vcc, 0, v6
	v_cndmask_b32_e64 v6, 0, 1, vcc
	s_waitcnt lgkmcnt(0)
	v_lshrrev_b32_e32 v21, 16, v8
	v_mul_f16_sdwa v19, v61, v21 dst_sel:DWORD dst_unused:UNUSED_PAD src0_sel:WORD_1 src1_sel:DWORD
	v_fma_f16 v19, v61, v8, v19
	v_cvt_f32_f16_e32 v19, v19
	v_lshl_or_b32 v6, v6, 9, v16
	v_cmp_eq_u32_e32 vcc, s10, v12
	v_cndmask_b32_e32 v6, v14, v6, vcc
	v_cvt_f64_f32_e32 v[19:20], v19
	v_lshrrev_b32_e32 v10, 16, v10
	v_and_or_b32 v6, v10, s11, v6
	v_and_b32_e32 v0, 0xffff, v0
	v_mul_f64 v[19:20], v[19:20], s[2:3]
	v_lshl_or_b32 v0, v6, 16, v0
	v_mov_b32_e32 v6, s4
	v_add_co_u32_e32 v17, vcc, s5, v17
	v_addc_co_u32_e32 v18, vcc, v18, v6, vcc
	global_store_dword v[17:18], v0, off
	v_and_or_b32 v0, v20, s6, v19
	v_cmp_ne_u32_e32 vcc, 0, v0
	v_cndmask_b32_e64 v0, 0, 1, vcc
	v_lshrrev_b32_e32 v6, 8, v20
	v_bfe_u32 v10, v20, 20, 11
	v_mul_f16_sdwa v8, v61, v8 dst_sel:DWORD dst_unused:UNUSED_PAD src0_sel:WORD_1 src1_sel:DWORD
	v_and_or_b32 v0, v6, s7, v0
	v_sub_u32_e32 v12, 0x3f1, v10
	v_fma_f16 v8, v61, v21, -v8
	v_or_b32_e32 v6, 0x1000, v0
	v_med3_i32 v12, v12, 0, 13
	v_cvt_f32_f16_e32 v8, v8
	v_lshrrev_b32_e32 v14, v12, v6
	v_lshlrev_b32_e32 v12, v12, v14
	v_cmp_ne_u32_e32 vcc, v12, v6
	v_cndmask_b32_e64 v6, 0, 1, vcc
	v_add_u32_e32 v10, 0xfffffc10, v10
	v_cvt_f64_f32_e32 v[21:22], v8
	v_or_b32_e32 v6, v14, v6
	v_lshl_or_b32 v12, v10, 12, v0
	v_cmp_gt_i32_e32 vcc, 1, v10
	v_cndmask_b32_e32 v6, v12, v6, vcc
	v_and_b32_e32 v12, 7, v6
	v_cmp_lt_i32_e32 vcc, 5, v12
	v_cmp_eq_u32_e64 s[0:1], 3, v12
	v_mul_f64 v[21:22], v[21:22], s[2:3]
	v_lshrrev_b32_e32 v6, 2, v6
	s_or_b64 vcc, s[0:1], vcc
	v_addc_co_u32_e32 v6, vcc, 0, v6, vcc
	v_cmp_gt_i32_e32 vcc, 31, v10
	v_cndmask_b32_e32 v6, v16, v6, vcc
	v_cmp_ne_u32_e32 vcc, 0, v0
	v_cndmask_b32_e64 v0, 0, 1, vcc
	v_lshl_or_b32 v0, v0, 9, v16
	v_cmp_eq_u32_e32 vcc, s10, v10
	v_cndmask_b32_e32 v0, v6, v0, vcc
	v_lshrrev_b32_e32 v6, 16, v20
	v_and_or_b32 v0, v6, s11, v0
	v_and_or_b32 v6, v22, s6, v21
	v_cmp_ne_u32_e32 vcc, 0, v6
	v_cndmask_b32_e64 v6, 0, 1, vcc
	v_lshrrev_b32_e32 v8, 8, v22
	v_bfe_u32 v10, v22, 20, 11
	v_and_or_b32 v6, v8, s7, v6
	v_sub_u32_e32 v12, 0x3f1, v10
	v_or_b32_e32 v8, 0x1000, v6
	v_med3_i32 v12, v12, 0, 13
	v_lshrrev_b32_e32 v14, v12, v8
	v_lshlrev_b32_e32 v12, v12, v14
	v_cmp_ne_u32_e32 vcc, v12, v8
	v_cndmask_b32_e64 v8, 0, 1, vcc
	v_add_u32_e32 v10, 0xfffffc10, v10
	v_or_b32_e32 v8, v14, v8
	v_lshl_or_b32 v12, v10, 12, v6
	v_cmp_gt_i32_e32 vcc, 1, v10
	v_cndmask_b32_e32 v8, v12, v8, vcc
	v_and_b32_e32 v12, 7, v8
	v_cmp_lt_i32_e32 vcc, 5, v12
	v_cmp_eq_u32_e64 s[0:1], 3, v12
	v_lshrrev_b32_e32 v12, 16, v11
	v_mul_f16_sdwa v14, v59, v12 dst_sel:DWORD dst_unused:UNUSED_PAD src0_sel:WORD_1 src1_sel:DWORD
	v_fma_f16 v14, v59, v11, v14
	v_cvt_f32_f16_e32 v14, v14
	v_lshrrev_b32_e32 v8, 2, v8
	s_or_b64 vcc, s[0:1], vcc
	v_addc_co_u32_e32 v8, vcc, 0, v8, vcc
	v_cvt_f64_f32_e32 v[19:20], v14
	v_cmp_gt_i32_e32 vcc, 31, v10
	v_cndmask_b32_e32 v8, v16, v8, vcc
	v_cmp_ne_u32_e32 vcc, 0, v6
	v_mul_f64 v[19:20], v[19:20], s[2:3]
	v_cndmask_b32_e64 v6, 0, 1, vcc
	v_lshl_or_b32 v6, v6, 9, v16
	v_cmp_eq_u32_e32 vcc, s10, v10
	v_cndmask_b32_e32 v6, v8, v6, vcc
	v_lshrrev_b32_e32 v8, 16, v22
	v_and_or_b32 v6, v8, s11, v6
	v_and_b32_e32 v0, 0xffff, v0
	v_lshl_or_b32 v0, v6, 16, v0
	v_mov_b32_e32 v6, s4
	v_add_co_u32_e32 v17, vcc, s5, v17
	v_addc_co_u32_e32 v18, vcc, v18, v6, vcc
	global_store_dword v[17:18], v0, off
	v_and_or_b32 v0, v20, s6, v19
	v_cmp_ne_u32_e32 vcc, 0, v0
	v_cndmask_b32_e64 v0, 0, 1, vcc
	v_lshrrev_b32_e32 v6, 8, v20
	v_bfe_u32 v8, v20, 20, 11
	v_and_or_b32 v0, v6, s7, v0
	v_sub_u32_e32 v10, 0x3f1, v8
	v_or_b32_e32 v6, 0x1000, v0
	v_med3_i32 v10, v10, 0, 13
	v_lshrrev_b32_e32 v14, v10, v6
	v_lshlrev_b32_e32 v10, v10, v14
	v_cmp_ne_u32_e32 vcc, v10, v6
	v_cndmask_b32_e64 v6, 0, 1, vcc
	v_add_u32_e32 v8, 0xfffffc10, v8
	v_or_b32_e32 v6, v14, v6
	v_lshl_or_b32 v10, v8, 12, v0
	v_cmp_gt_i32_e32 vcc, 1, v8
	v_cndmask_b32_e32 v6, v10, v6, vcc
	v_and_b32_e32 v10, 7, v6
	v_cmp_lt_i32_e32 vcc, 5, v10
	v_cmp_eq_u32_e64 s[0:1], 3, v10
	v_lshrrev_b32_e32 v6, 2, v6
	s_or_b64 vcc, s[0:1], vcc
	v_addc_co_u32_e32 v6, vcc, 0, v6, vcc
	v_cmp_gt_i32_e32 vcc, 31, v8
	v_cndmask_b32_e32 v6, v16, v6, vcc
	v_cmp_ne_u32_e32 vcc, 0, v0
	v_cndmask_b32_e64 v0, 0, 1, vcc
	v_lshl_or_b32 v0, v0, 9, v16
	v_cmp_eq_u32_e32 vcc, s10, v8
	v_cndmask_b32_e32 v0, v6, v0, vcc
	v_lshrrev_b32_e32 v6, 16, v20
	buffer_load_dword v20, off, s[24:27], 0 offset:56 ; 4-byte Folded Reload
	v_mul_f16_sdwa v11, v59, v11 dst_sel:DWORD dst_unused:UNUSED_PAD src0_sel:WORD_1 src1_sel:DWORD
	v_fma_f16 v11, v59, v12, -v11
	v_cvt_f32_f16_e32 v11, v11
	v_and_or_b32 v0, v6, s11, v0
	v_and_b32_e32 v0, 0xffff, v0
	v_cvt_f64_f32_e32 v[10:11], v11
	v_mul_f64 v[11:12], v[10:11], s[2:3]
	v_and_or_b32 v6, v12, s6, v11
	v_cmp_ne_u32_e32 vcc, 0, v6
	v_cndmask_b32_e64 v6, 0, 1, vcc
	v_lshrrev_b32_e32 v8, 8, v12
	v_bfe_u32 v10, v12, 20, 11
	v_and_or_b32 v6, v8, s7, v6
	v_sub_u32_e32 v11, 0x3f1, v10
	v_or_b32_e32 v8, 0x1000, v6
	v_med3_i32 v11, v11, 0, 13
	v_lshrrev_b32_e32 v14, v11, v8
	v_lshlrev_b32_e32 v11, v11, v14
	v_cmp_ne_u32_e32 vcc, v11, v8
	v_cndmask_b32_e64 v8, 0, 1, vcc
	v_or_b32_e32 v8, v14, v8
	v_add_u32_e32 v14, 0xfffffc10, v10
	v_lshl_or_b32 v10, v14, 12, v6
	v_cmp_gt_i32_e32 vcc, 1, v14
	v_cndmask_b32_e32 v8, v10, v8, vcc
	v_and_b32_e32 v10, 7, v8
	v_cmp_lt_i32_e32 vcc, 5, v10
	v_cmp_eq_u32_e64 s[0:1], 3, v10
	ds_read2st64_b32 v[10:11], v48 offset0:32 offset1:34
	v_lshrrev_b32_e32 v8, 2, v8
	s_or_b64 vcc, s[0:1], vcc
	v_addc_co_u32_e32 v8, vcc, 0, v8, vcc
	s_waitcnt lgkmcnt(0)
	v_lshrrev_b32_e32 v21, 16, v10
	v_cmp_gt_i32_e32 vcc, 31, v14
	v_cndmask_b32_e32 v8, v16, v8, vcc
	v_cmp_ne_u32_e32 vcc, 0, v6
	v_cndmask_b32_e64 v6, 0, 1, vcc
	v_lshl_or_b32 v6, v6, 9, v16
	v_cmp_eq_u32_e32 vcc, s10, v14
	v_cndmask_b32_e32 v6, v8, v6, vcc
	v_lshrrev_b32_e32 v8, 16, v12
	v_and_or_b32 v6, v8, s11, v6
	v_lshl_or_b32 v0, v6, 16, v0
	v_mov_b32_e32 v6, s4
	v_add_co_u32_e32 v17, vcc, s5, v17
	v_addc_co_u32_e32 v18, vcc, v18, v6, vcc
	global_store_dword v[17:18], v0, off
	s_waitcnt vmcnt(1)
	v_mul_f16_sdwa v19, v20, v21 dst_sel:DWORD dst_unused:UNUSED_PAD src0_sel:WORD_1 src1_sel:DWORD
	v_fma_f16 v19, v20, v10, v19
	v_cvt_f32_f16_e32 v19, v19
	v_mov_b32_e32 v22, v20
	v_mul_f16_sdwa v10, v22, v10 dst_sel:DWORD dst_unused:UNUSED_PAD src0_sel:WORD_1 src1_sel:DWORD
	v_fma_f16 v10, v22, v21, -v10
	v_cvt_f64_f32_e32 v[19:20], v19
	v_cvt_f32_f16_e32 v10, v10
	v_mul_f64 v[19:20], v[19:20], s[2:3]
	v_cvt_f64_f32_e32 v[21:22], v10
	v_mul_f64 v[21:22], v[21:22], s[2:3]
	v_and_or_b32 v0, v20, s6, v19
	buffer_load_dword v19, off, s[24:27], 0 offset:48 ; 4-byte Folded Reload
	v_cmp_ne_u32_e32 vcc, 0, v0
	v_cndmask_b32_e64 v0, 0, 1, vcc
	v_lshrrev_b32_e32 v6, 8, v20
	v_bfe_u32 v8, v20, 20, 11
	v_and_or_b32 v0, v6, s7, v0
	v_sub_u32_e32 v12, 0x3f1, v8
	v_or_b32_e32 v6, 0x1000, v0
	v_med3_i32 v12, v12, 0, 13
	v_lshrrev_b32_e32 v14, v12, v6
	v_lshlrev_b32_e32 v12, v12, v14
	v_cmp_ne_u32_e32 vcc, v12, v6
	v_cndmask_b32_e64 v6, 0, 1, vcc
	v_add_u32_e32 v8, 0xfffffc10, v8
	v_or_b32_e32 v6, v14, v6
	v_lshl_or_b32 v12, v8, 12, v0
	v_cmp_gt_i32_e32 vcc, 1, v8
	v_cndmask_b32_e32 v6, v12, v6, vcc
	v_and_b32_e32 v12, 7, v6
	v_cmp_lt_i32_e32 vcc, 5, v12
	v_cmp_eq_u32_e64 s[0:1], 3, v12
	v_lshrrev_b32_e32 v6, 2, v6
	s_or_b64 vcc, s[0:1], vcc
	v_addc_co_u32_e32 v6, vcc, 0, v6, vcc
	v_cmp_gt_i32_e32 vcc, 31, v8
	v_cndmask_b32_e32 v6, v16, v6, vcc
	v_cmp_ne_u32_e32 vcc, 0, v0
	v_cndmask_b32_e64 v0, 0, 1, vcc
	v_lshl_or_b32 v0, v0, 9, v16
	v_cmp_eq_u32_e32 vcc, s10, v8
	v_cndmask_b32_e32 v0, v6, v0, vcc
	v_lshrrev_b32_e32 v6, 16, v20
	v_and_or_b32 v0, v6, s11, v0
	v_and_or_b32 v6, v22, s6, v21
	v_cmp_ne_u32_e32 vcc, 0, v6
	v_cndmask_b32_e64 v6, 0, 1, vcc
	v_lshrrev_b32_e32 v8, 8, v22
	v_bfe_u32 v10, v22, 20, 11
	v_and_or_b32 v6, v8, s7, v6
	v_sub_u32_e32 v12, 0x3f1, v10
	v_or_b32_e32 v8, 0x1000, v6
	v_med3_i32 v12, v12, 0, 13
	v_lshrrev_b32_e32 v14, v12, v8
	v_lshlrev_b32_e32 v12, v12, v14
	v_cmp_ne_u32_e32 vcc, v12, v8
	v_cndmask_b32_e64 v8, 0, 1, vcc
	v_add_u32_e32 v10, 0xfffffc10, v10
	v_or_b32_e32 v8, v14, v8
	v_lshl_or_b32 v12, v10, 12, v6
	v_cmp_gt_i32_e32 vcc, 1, v10
	v_cndmask_b32_e32 v8, v12, v8, vcc
	v_and_b32_e32 v12, 7, v8
	v_cmp_lt_i32_e32 vcc, 5, v12
	v_cmp_eq_u32_e64 s[0:1], 3, v12
	v_lshrrev_b32_e32 v12, 16, v13
	v_lshrrev_b32_e32 v8, 2, v8
	s_or_b64 vcc, s[0:1], vcc
	v_addc_co_u32_e32 v8, vcc, 0, v8, vcc
	v_cmp_gt_i32_e32 vcc, 31, v10
	v_cndmask_b32_e32 v8, v16, v8, vcc
	v_cmp_ne_u32_e32 vcc, 0, v6
	v_cndmask_b32_e64 v6, 0, 1, vcc
	v_lshl_or_b32 v6, v6, 9, v16
	v_cmp_eq_u32_e32 vcc, s10, v10
	v_cndmask_b32_e32 v6, v8, v6, vcc
	v_lshrrev_b32_e32 v8, 16, v22
	v_and_or_b32 v6, v8, s11, v6
	v_and_b32_e32 v0, 0xffff, v0
	v_lshl_or_b32 v0, v6, 16, v0
	v_mov_b32_e32 v6, s4
	v_add_co_u32_e32 v17, vcc, s5, v17
	v_addc_co_u32_e32 v18, vcc, v18, v6, vcc
	global_store_dword v[17:18], v0, off
	s_waitcnt vmcnt(1)
	v_mul_f16_sdwa v14, v19, v12 dst_sel:DWORD dst_unused:UNUSED_PAD src0_sel:WORD_1 src1_sel:DWORD
	v_fma_f16 v14, v19, v13, v14
	v_cvt_f32_f16_e32 v14, v14
	v_mov_b32_e32 v21, v19
	v_mul_f16_sdwa v13, v21, v13 dst_sel:DWORD dst_unused:UNUSED_PAD src0_sel:WORD_1 src1_sel:DWORD
	v_fma_f16 v12, v21, v12, -v13
	v_cvt_f64_f32_e32 v[19:20], v14
	v_cvt_f32_f16_e32 v12, v12
	v_mul_f64 v[19:20], v[19:20], s[2:3]
	v_cvt_f64_f32_e32 v[12:13], v12
	v_and_or_b32 v0, v20, s6, v19
	v_cmp_ne_u32_e32 vcc, 0, v0
	v_cndmask_b32_e64 v0, 0, 1, vcc
	v_lshrrev_b32_e32 v6, 8, v20
	v_bfe_u32 v8, v20, 20, 11
	v_and_or_b32 v0, v6, s7, v0
	v_sub_u32_e32 v10, 0x3f1, v8
	v_or_b32_e32 v6, 0x1000, v0
	v_med3_i32 v10, v10, 0, 13
	v_lshrrev_b32_e32 v14, v10, v6
	v_lshlrev_b32_e32 v10, v10, v14
	v_cmp_ne_u32_e32 vcc, v10, v6
	v_cndmask_b32_e64 v6, 0, 1, vcc
	v_add_u32_e32 v8, 0xfffffc10, v8
	v_or_b32_e32 v6, v14, v6
	v_lshl_or_b32 v10, v8, 12, v0
	v_cmp_gt_i32_e32 vcc, 1, v8
	v_cndmask_b32_e32 v6, v10, v6, vcc
	v_and_b32_e32 v10, 7, v6
	v_cmp_lt_i32_e32 vcc, 5, v10
	v_cmp_eq_u32_e64 s[0:1], 3, v10
	v_lshrrev_b32_e32 v6, 2, v6
	s_or_b64 vcc, s[0:1], vcc
	v_addc_co_u32_e32 v6, vcc, 0, v6, vcc
	v_cmp_gt_i32_e32 vcc, 31, v8
	v_cndmask_b32_e32 v6, v16, v6, vcc
	v_cmp_ne_u32_e32 vcc, 0, v0
	v_cndmask_b32_e64 v0, 0, 1, vcc
	v_lshl_or_b32 v0, v0, 9, v16
	v_cmp_eq_u32_e32 vcc, s10, v8
	v_cndmask_b32_e32 v0, v6, v0, vcc
	v_lshrrev_b32_e32 v6, 16, v20
	buffer_load_dword v20, off, s[24:27], 0 offset:52 ; 4-byte Folded Reload
	v_mul_f64 v[13:14], v[12:13], s[2:3]
	v_and_or_b32 v0, v6, s11, v0
	v_and_b32_e32 v0, 0xffff, v0
	v_and_or_b32 v6, v14, s6, v13
	v_cmp_ne_u32_e32 vcc, 0, v6
	v_cndmask_b32_e64 v6, 0, 1, vcc
	v_lshrrev_b32_e32 v8, 8, v14
	v_bfe_u32 v10, v14, 20, 11
	v_and_or_b32 v6, v8, s7, v6
	v_sub_u32_e32 v12, 0x3f1, v10
	v_or_b32_e32 v8, 0x1000, v6
	v_med3_i32 v12, v12, 0, 13
	v_lshrrev_b32_e32 v13, v12, v8
	v_lshlrev_b32_e32 v12, v12, v13
	v_cmp_ne_u32_e32 vcc, v12, v8
	v_cndmask_b32_e64 v8, 0, 1, vcc
	v_add_u32_e32 v10, 0xfffffc10, v10
	v_or_b32_e32 v8, v13, v8
	v_lshl_or_b32 v12, v10, 12, v6
	v_cmp_gt_i32_e32 vcc, 1, v10
	v_cndmask_b32_e32 v8, v12, v8, vcc
	v_and_b32_e32 v12, 7, v8
	v_cmp_lt_i32_e32 vcc, 5, v12
	v_cmp_eq_u32_e64 s[0:1], 3, v12
	ds_read2st64_b32 v[12:13], v48 offset0:44 offset1:46
	v_lshrrev_b32_e32 v8, 2, v8
	s_or_b64 vcc, s[0:1], vcc
	v_addc_co_u32_e32 v8, vcc, 0, v8, vcc
	s_waitcnt lgkmcnt(0)
	v_lshrrev_b32_e32 v21, 16, v12
	v_cmp_gt_i32_e32 vcc, 31, v10
	v_cndmask_b32_e32 v8, v16, v8, vcc
	v_cmp_ne_u32_e32 vcc, 0, v6
	v_cndmask_b32_e64 v6, 0, 1, vcc
	v_lshl_or_b32 v6, v6, 9, v16
	v_cmp_eq_u32_e32 vcc, s10, v10
	v_cndmask_b32_e32 v6, v8, v6, vcc
	v_lshrrev_b32_e32 v8, 16, v14
	v_and_or_b32 v6, v8, s11, v6
	v_lshl_or_b32 v0, v6, 16, v0
	v_mov_b32_e32 v6, s4
	v_add_co_u32_e32 v17, vcc, s5, v17
	v_addc_co_u32_e32 v18, vcc, v18, v6, vcc
	global_store_dword v[17:18], v0, off
	s_waitcnt vmcnt(1)
	v_mul_f16_sdwa v19, v20, v21 dst_sel:DWORD dst_unused:UNUSED_PAD src0_sel:WORD_1 src1_sel:DWORD
	v_fma_f16 v19, v20, v12, v19
	v_cvt_f32_f16_e32 v19, v19
	v_mov_b32_e32 v22, v20
	v_mul_f16_sdwa v12, v22, v12 dst_sel:DWORD dst_unused:UNUSED_PAD src0_sel:WORD_1 src1_sel:DWORD
	v_fma_f16 v12, v22, v21, -v12
	v_cvt_f64_f32_e32 v[19:20], v19
	v_cvt_f32_f16_e32 v12, v12
	v_mul_f64 v[19:20], v[19:20], s[2:3]
	v_cvt_f64_f32_e32 v[21:22], v12
	v_mul_f64 v[21:22], v[21:22], s[2:3]
	v_and_or_b32 v0, v20, s6, v19
	buffer_load_dword v19, off, s[24:27], 0 offset:44 ; 4-byte Folded Reload
	v_cmp_ne_u32_e32 vcc, 0, v0
	v_cndmask_b32_e64 v0, 0, 1, vcc
	v_lshrrev_b32_e32 v6, 8, v20
	v_bfe_u32 v8, v20, 20, 11
	v_and_or_b32 v0, v6, s7, v0
	v_sub_u32_e32 v10, 0x3f1, v8
	v_or_b32_e32 v6, 0x1000, v0
	v_med3_i32 v10, v10, 0, 13
	v_lshrrev_b32_e32 v14, v10, v6
	v_lshlrev_b32_e32 v10, v10, v14
	v_cmp_ne_u32_e32 vcc, v10, v6
	v_cndmask_b32_e64 v6, 0, 1, vcc
	v_add_u32_e32 v8, 0xfffffc10, v8
	v_or_b32_e32 v6, v14, v6
	v_lshl_or_b32 v10, v8, 12, v0
	v_cmp_gt_i32_e32 vcc, 1, v8
	v_cndmask_b32_e32 v6, v10, v6, vcc
	v_and_b32_e32 v10, 7, v6
	v_cmp_lt_i32_e32 vcc, 5, v10
	v_cmp_eq_u32_e64 s[0:1], 3, v10
	v_lshrrev_b32_e32 v6, 2, v6
	s_or_b64 vcc, s[0:1], vcc
	v_addc_co_u32_e32 v6, vcc, 0, v6, vcc
	v_cmp_gt_i32_e32 vcc, 31, v8
	v_cndmask_b32_e32 v6, v16, v6, vcc
	v_cmp_ne_u32_e32 vcc, 0, v0
	v_cndmask_b32_e64 v0, 0, 1, vcc
	v_lshl_or_b32 v0, v0, 9, v16
	v_cmp_eq_u32_e32 vcc, s10, v8
	v_cndmask_b32_e32 v0, v6, v0, vcc
	v_lshrrev_b32_e32 v6, 16, v20
	v_and_or_b32 v0, v6, s11, v0
	v_and_or_b32 v6, v22, s6, v21
	v_cmp_ne_u32_e32 vcc, 0, v6
	v_cndmask_b32_e64 v6, 0, 1, vcc
	v_lshrrev_b32_e32 v8, 8, v22
	v_bfe_u32 v10, v22, 20, 11
	v_and_or_b32 v6, v8, s7, v6
	v_sub_u32_e32 v12, 0x3f1, v10
	v_or_b32_e32 v8, 0x1000, v6
	v_med3_i32 v12, v12, 0, 13
	v_lshrrev_b32_e32 v14, v12, v8
	v_lshlrev_b32_e32 v12, v12, v14
	v_cmp_ne_u32_e32 vcc, v12, v8
	v_cndmask_b32_e64 v8, 0, 1, vcc
	v_add_u32_e32 v10, 0xfffffc10, v10
	v_or_b32_e32 v8, v14, v8
	v_lshl_or_b32 v12, v10, 12, v6
	v_cmp_gt_i32_e32 vcc, 1, v10
	v_cndmask_b32_e32 v8, v12, v8, vcc
	v_and_b32_e32 v12, 7, v8
	v_cmp_lt_i32_e32 vcc, 5, v12
	v_cmp_eq_u32_e64 s[0:1], 3, v12
	v_lshrrev_b32_e32 v12, 16, v15
	v_lshrrev_b32_e32 v8, 2, v8
	s_or_b64 vcc, s[0:1], vcc
	v_addc_co_u32_e32 v8, vcc, 0, v8, vcc
	v_cmp_gt_i32_e32 vcc, 31, v10
	v_cndmask_b32_e32 v8, v16, v8, vcc
	v_cmp_ne_u32_e32 vcc, 0, v6
	v_cndmask_b32_e64 v6, 0, 1, vcc
	v_lshl_or_b32 v6, v6, 9, v16
	v_cmp_eq_u32_e32 vcc, s10, v10
	v_cndmask_b32_e32 v6, v8, v6, vcc
	v_lshrrev_b32_e32 v8, 16, v22
	v_and_or_b32 v6, v8, s11, v6
	v_and_b32_e32 v0, 0xffff, v0
	v_lshl_or_b32 v0, v6, 16, v0
	v_mov_b32_e32 v6, s4
	v_add_co_u32_e32 v17, vcc, s5, v17
	v_addc_co_u32_e32 v18, vcc, v18, v6, vcc
	global_store_dword v[17:18], v0, off
	s_waitcnt vmcnt(1)
	v_mul_f16_sdwa v14, v19, v12 dst_sel:DWORD dst_unused:UNUSED_PAD src0_sel:WORD_1 src1_sel:DWORD
	v_fma_f16 v14, v19, v15, v14
	v_cvt_f32_f16_e32 v14, v14
	v_mov_b32_e32 v21, v19
	v_cvt_f64_f32_e32 v[19:20], v14
	v_mul_f64 v[19:20], v[19:20], s[2:3]
	v_and_or_b32 v0, v20, s6, v19
	v_cmp_ne_u32_e32 vcc, 0, v0
	v_cndmask_b32_e64 v0, 0, 1, vcc
	v_lshrrev_b32_e32 v6, 8, v20
	v_bfe_u32 v8, v20, 20, 11
	v_and_or_b32 v0, v6, s7, v0
	v_sub_u32_e32 v10, 0x3f1, v8
	v_or_b32_e32 v6, 0x1000, v0
	v_med3_i32 v10, v10, 0, 13
	v_lshrrev_b32_e32 v14, v10, v6
	v_lshlrev_b32_e32 v10, v10, v14
	v_cmp_ne_u32_e32 vcc, v10, v6
	v_cndmask_b32_e64 v6, 0, 1, vcc
	v_add_u32_e32 v8, 0xfffffc10, v8
	v_or_b32_e32 v6, v14, v6
	v_lshl_or_b32 v10, v8, 12, v0
	v_cmp_gt_i32_e32 vcc, 1, v8
	v_cndmask_b32_e32 v6, v10, v6, vcc
	v_and_b32_e32 v10, 7, v6
	v_cmp_lt_i32_e32 vcc, 5, v10
	v_cmp_eq_u32_e64 s[0:1], 3, v10
	v_lshrrev_b32_e32 v6, 2, v6
	s_or_b64 vcc, s[0:1], vcc
	v_addc_co_u32_e32 v6, vcc, 0, v6, vcc
	v_cmp_gt_i32_e32 vcc, 31, v8
	v_cndmask_b32_e32 v6, v16, v6, vcc
	v_cmp_ne_u32_e32 vcc, 0, v0
	v_cndmask_b32_e64 v0, 0, 1, vcc
	v_lshl_or_b32 v0, v0, 9, v16
	v_cmp_eq_u32_e32 vcc, s10, v8
	v_cndmask_b32_e32 v0, v6, v0, vcc
	v_lshrrev_b32_e32 v6, 16, v20
	buffer_load_dword v20, off, s[24:27], 0 offset:40 ; 4-byte Folded Reload
	v_mul_f16_sdwa v14, v21, v15 dst_sel:DWORD dst_unused:UNUSED_PAD src0_sel:WORD_1 src1_sel:DWORD
	v_fma_f16 v12, v21, v12, -v14
	v_cvt_f32_f16_e32 v12, v12
	v_and_or_b32 v0, v6, s11, v0
	v_and_b32_e32 v0, 0xffff, v0
	v_cvt_f64_f32_e32 v[14:15], v12
	v_mul_f64 v[21:22], v[14:15], s[2:3]
	v_and_or_b32 v6, v22, s6, v21
	v_cmp_ne_u32_e32 vcc, 0, v6
	v_cndmask_b32_e64 v6, 0, 1, vcc
	v_lshrrev_b32_e32 v8, 8, v22
	v_bfe_u32 v10, v22, 20, 11
	v_and_or_b32 v6, v8, s7, v6
	v_sub_u32_e32 v12, 0x3f1, v10
	v_or_b32_e32 v8, 0x1000, v6
	v_med3_i32 v12, v12, 0, 13
	v_lshrrev_b32_e32 v14, v12, v8
	v_lshlrev_b32_e32 v12, v12, v14
	v_cmp_ne_u32_e32 vcc, v12, v8
	v_cndmask_b32_e64 v8, 0, 1, vcc
	v_or_b32_e32 v8, v14, v8
	ds_read2st64_b32 v[14:15], v48 offset0:56 offset1:58
	v_add_u32_e32 v10, 0xfffffc10, v10
	v_lshl_or_b32 v12, v10, 12, v6
	v_cmp_gt_i32_e32 vcc, 1, v10
	v_cndmask_b32_e32 v8, v12, v8, vcc
	v_and_b32_e32 v12, 7, v8
	v_cmp_lt_i32_e32 vcc, 5, v12
	v_cmp_eq_u32_e64 s[0:1], 3, v12
	s_waitcnt lgkmcnt(0)
	v_lshrrev_b32_e32 v12, 16, v14
	v_lshrrev_b32_e32 v8, 2, v8
	s_or_b64 vcc, s[0:1], vcc
	v_addc_co_u32_e32 v8, vcc, 0, v8, vcc
	v_cmp_gt_i32_e32 vcc, 31, v10
	v_cndmask_b32_e32 v8, v16, v8, vcc
	v_cmp_ne_u32_e32 vcc, 0, v6
	v_cndmask_b32_e64 v6, 0, 1, vcc
	v_lshl_or_b32 v6, v6, 9, v16
	v_cmp_eq_u32_e32 vcc, s10, v10
	v_cndmask_b32_e32 v6, v8, v6, vcc
	v_lshrrev_b32_e32 v8, 16, v22
	v_and_or_b32 v6, v8, s11, v6
	v_lshl_or_b32 v0, v6, 16, v0
	v_mov_b32_e32 v6, s4
	v_add_co_u32_e32 v17, vcc, s5, v17
	v_addc_co_u32_e32 v18, vcc, v18, v6, vcc
	global_store_dword v[17:18], v0, off
	s_waitcnt vmcnt(1)
	v_mul_f16_sdwa v19, v20, v12 dst_sel:DWORD dst_unused:UNUSED_PAD src0_sel:WORD_1 src1_sel:DWORD
	v_fma_f16 v19, v20, v14, v19
	v_cvt_f32_f16_e32 v19, v19
	v_mov_b32_e32 v21, v20
	v_mul_f16_sdwa v14, v21, v14 dst_sel:DWORD dst_unused:UNUSED_PAD src0_sel:WORD_1 src1_sel:DWORD
	v_fma_f16 v12, v21, v12, -v14
	v_cvt_f64_f32_e32 v[19:20], v19
	v_cvt_f32_f16_e32 v12, v12
	v_mul_f64 v[19:20], v[19:20], s[2:3]
	v_cvt_f64_f32_e32 v[21:22], v12
	v_mul_f64 v[21:22], v[21:22], s[2:3]
	v_and_or_b32 v0, v20, s6, v19
	v_cmp_ne_u32_e32 vcc, 0, v0
	v_cndmask_b32_e64 v0, 0, 1, vcc
	v_lshrrev_b32_e32 v6, 8, v20
	v_bfe_u32 v8, v20, 20, 11
	v_and_or_b32 v0, v6, s7, v0
	v_sub_u32_e32 v10, 0x3f1, v8
	v_or_b32_e32 v6, 0x1000, v0
	v_med3_i32 v10, v10, 0, 13
	v_lshrrev_b32_e32 v19, v10, v6
	v_lshlrev_b32_e32 v10, v10, v19
	v_cmp_ne_u32_e32 vcc, v10, v6
	v_cndmask_b32_e64 v6, 0, 1, vcc
	v_or_b32_e32 v6, v19, v6
	buffer_load_dword v19, off, s[24:27], 0 offset:36 ; 4-byte Folded Reload
	v_add_u32_e32 v8, 0xfffffc10, v8
	v_lshl_or_b32 v10, v8, 12, v0
	v_cmp_gt_i32_e32 vcc, 1, v8
	v_cndmask_b32_e32 v6, v10, v6, vcc
	v_and_b32_e32 v10, 7, v6
	v_cmp_lt_i32_e32 vcc, 5, v10
	v_cmp_eq_u32_e64 s[0:1], 3, v10
	v_lshrrev_b32_e32 v6, 2, v6
	s_or_b64 vcc, s[0:1], vcc
	v_addc_co_u32_e32 v6, vcc, 0, v6, vcc
	v_cmp_gt_i32_e32 vcc, 31, v8
	v_cndmask_b32_e32 v6, v16, v6, vcc
	v_cmp_ne_u32_e32 vcc, 0, v0
	v_cndmask_b32_e64 v0, 0, 1, vcc
	v_lshl_or_b32 v0, v0, 9, v16
	v_cmp_eq_u32_e32 vcc, s10, v8
	v_cndmask_b32_e32 v0, v6, v0, vcc
	v_lshrrev_b32_e32 v6, 16, v20
	v_and_or_b32 v0, v6, s11, v0
	v_and_or_b32 v6, v22, s6, v21
	v_cmp_ne_u32_e32 vcc, 0, v6
	v_cndmask_b32_e64 v6, 0, 1, vcc
	v_lshrrev_b32_e32 v8, 8, v22
	v_bfe_u32 v10, v22, 20, 11
	v_and_or_b32 v6, v8, s7, v6
	v_sub_u32_e32 v12, 0x3f1, v10
	v_or_b32_e32 v8, 0x1000, v6
	v_med3_i32 v12, v12, 0, 13
	v_lshrrev_b32_e32 v14, v12, v8
	v_lshlrev_b32_e32 v12, v12, v14
	v_cmp_ne_u32_e32 vcc, v12, v8
	v_cndmask_b32_e64 v8, 0, 1, vcc
	v_add_u32_e32 v10, 0xfffffc10, v10
	v_or_b32_e32 v8, v14, v8
	v_lshl_or_b32 v12, v10, 12, v6
	v_cmp_gt_i32_e32 vcc, 1, v10
	v_cndmask_b32_e32 v8, v12, v8, vcc
	v_and_b32_e32 v12, 7, v8
	v_cmp_lt_i32_e32 vcc, 5, v12
	v_cmp_eq_u32_e64 s[0:1], 3, v12
	v_lshrrev_b32_e32 v12, 16, v1
	v_lshrrev_b32_e32 v8, 2, v8
	s_or_b64 vcc, s[0:1], vcc
	v_addc_co_u32_e32 v8, vcc, 0, v8, vcc
	v_cmp_gt_i32_e32 vcc, 31, v10
	v_cndmask_b32_e32 v8, v16, v8, vcc
	v_cmp_ne_u32_e32 vcc, 0, v6
	v_cndmask_b32_e64 v6, 0, 1, vcc
	v_lshl_or_b32 v6, v6, 9, v16
	v_cmp_eq_u32_e32 vcc, s10, v10
	v_cndmask_b32_e32 v6, v8, v6, vcc
	v_lshrrev_b32_e32 v8, 16, v22
	v_and_or_b32 v6, v8, s11, v6
	v_and_b32_e32 v0, 0xffff, v0
	v_lshl_or_b32 v0, v6, 16, v0
	v_mov_b32_e32 v6, s4
	v_add_co_u32_e32 v17, vcc, s5, v17
	v_addc_co_u32_e32 v18, vcc, v18, v6, vcc
	global_store_dword v[17:18], v0, off
	s_waitcnt vmcnt(1)
	v_mul_f16_sdwa v14, v19, v12 dst_sel:DWORD dst_unused:UNUSED_PAD src0_sel:WORD_1 src1_sel:DWORD
	v_fma_f16 v14, v19, v1, v14
	v_cvt_f32_f16_e32 v14, v14
	v_mov_b32_e32 v21, v19
	v_mul_f16_sdwa v1, v21, v1 dst_sel:DWORD dst_unused:UNUSED_PAD src0_sel:WORD_1 src1_sel:DWORD
	v_fma_f16 v1, v21, v12, -v1
	v_cvt_f64_f32_e32 v[19:20], v14
	v_cvt_f32_f16_e32 v1, v1
	v_mul_f64 v[19:20], v[19:20], s[2:3]
	v_and_or_b32 v0, v20, s6, v19
	buffer_load_dword v19, off, s[24:27], 0 offset:32 ; 4-byte Folded Reload
	v_cmp_ne_u32_e32 vcc, 0, v0
	v_cndmask_b32_e64 v0, 0, 1, vcc
	v_lshrrev_b32_e32 v6, 8, v20
	v_bfe_u32 v8, v20, 20, 11
	v_and_or_b32 v6, v6, s7, v0
	v_sub_u32_e32 v10, 0x3f1, v8
	v_or_b32_e32 v0, 0x1000, v6
	v_med3_i32 v10, v10, 0, 13
	v_lshrrev_b32_e32 v14, v10, v0
	v_lshlrev_b32_e32 v10, v10, v14
	v_cmp_ne_u32_e32 vcc, v10, v0
	v_cndmask_b32_e64 v0, 0, 1, vcc
	v_add_u32_e32 v8, 0xfffffc10, v8
	v_or_b32_e32 v0, v14, v0
	v_lshl_or_b32 v10, v8, 12, v6
	v_cmp_gt_i32_e32 vcc, 1, v8
	v_cndmask_b32_e32 v0, v10, v0, vcc
	v_and_b32_e32 v10, 7, v0
	v_cmp_lt_i32_e32 vcc, 5, v10
	v_cmp_eq_u32_e64 s[0:1], 3, v10
	v_lshrrev_b32_e32 v10, 2, v0
	v_cvt_f64_f32_e32 v[0:1], v1
	s_or_b64 vcc, s[0:1], vcc
	v_addc_co_u32_e32 v10, vcc, 0, v10, vcc
	v_mul_f64 v[0:1], v[0:1], s[2:3]
	v_cmp_gt_i32_e32 vcc, 31, v8
	v_cndmask_b32_e32 v10, v16, v10, vcc
	v_cmp_ne_u32_e32 vcc, 0, v6
	v_cndmask_b32_e64 v6, 0, 1, vcc
	v_lshl_or_b32 v6, v6, 9, v16
	v_cmp_eq_u32_e32 vcc, s10, v8
	v_cndmask_b32_e32 v6, v10, v6, vcc
	v_and_or_b32 v0, v1, s6, v0
	v_lshrrev_b32_e32 v8, 16, v20
	v_cmp_ne_u32_e32 vcc, 0, v0
	v_and_or_b32 v6, v8, s11, v6
	v_cndmask_b32_e64 v0, 0, 1, vcc
	v_lshrrev_b32_e32 v8, 8, v1
	v_bfe_u32 v10, v1, 20, 11
	v_and_or_b32 v0, v8, s7, v0
	v_sub_u32_e32 v12, 0x3f1, v10
	v_or_b32_e32 v8, 0x1000, v0
	v_med3_i32 v12, v12, 0, 13
	v_lshrrev_b32_e32 v14, v12, v8
	v_lshlrev_b32_e32 v12, v12, v14
	v_cmp_ne_u32_e32 vcc, v12, v8
	v_cndmask_b32_e64 v8, 0, 1, vcc
	v_add_u32_e32 v10, 0xfffffc10, v10
	v_or_b32_e32 v8, v14, v8
	v_lshl_or_b32 v12, v10, 12, v0
	v_cmp_gt_i32_e32 vcc, 1, v10
	v_cndmask_b32_e32 v8, v12, v8, vcc
	v_and_b32_e32 v12, 7, v8
	v_cmp_lt_i32_e32 vcc, 5, v12
	v_cmp_eq_u32_e64 s[0:1], 3, v12
	v_lshrrev_b32_e32 v12, 16, v7
	v_lshrrev_b32_e32 v8, 2, v8
	s_or_b64 vcc, s[0:1], vcc
	v_addc_co_u32_e32 v8, vcc, 0, v8, vcc
	v_cmp_gt_i32_e32 vcc, 31, v10
	v_cndmask_b32_e32 v8, v16, v8, vcc
	v_cmp_ne_u32_e32 vcc, 0, v0
	v_cndmask_b32_e64 v0, 0, 1, vcc
	v_lshl_or_b32 v0, v0, 9, v16
	v_cmp_eq_u32_e32 vcc, s10, v10
	v_cndmask_b32_e32 v8, v8, v0, vcc
	v_lshrrev_b32_e32 v10, 16, v1
	v_mad_u64_u32 v[17:18], s[0:1], s8, v23, v[17:18]
	v_and_or_b32 v8, v10, s11, v8
	v_and_b32_e32 v6, 0xffff, v6
	v_lshl_or_b32 v6, v8, 16, v6
	v_add_u32_e32 v18, s9, v18
	global_store_dword v[17:18], v6, off
	s_waitcnt vmcnt(1)
	v_mul_f16_sdwa v14, v19, v12 dst_sel:DWORD dst_unused:UNUSED_PAD src0_sel:WORD_1 src1_sel:DWORD
	v_fma_f16 v14, v19, v7, v14
	v_cvt_f32_f16_e32 v14, v14
	v_mov_b32_e32 v21, v19
	v_mul_f16_sdwa v7, v21, v7 dst_sel:DWORD dst_unused:UNUSED_PAD src0_sel:WORD_1 src1_sel:DWORD
	v_fma_f16 v7, v21, v12, -v7
	v_cvt_f64_f32_e32 v[19:20], v14
	v_cvt_f32_f16_e32 v7, v7
	v_mul_f64 v[0:1], v[19:20], s[2:3]
	v_and_or_b32 v0, v1, s6, v0
	v_cmp_ne_u32_e32 vcc, 0, v0
	v_cndmask_b32_e64 v0, 0, 1, vcc
	v_lshrrev_b32_e32 v6, 8, v1
	v_bfe_u32 v8, v1, 20, 11
	v_and_or_b32 v0, v6, s7, v0
	v_sub_u32_e32 v10, 0x3f1, v8
	v_or_b32_e32 v6, 0x1000, v0
	v_med3_i32 v10, v10, 0, 13
	v_lshrrev_b32_e32 v14, v10, v6
	v_lshlrev_b32_e32 v10, v10, v14
	v_cmp_ne_u32_e32 vcc, v10, v6
	v_cndmask_b32_e64 v6, 0, 1, vcc
	v_or_b32_e32 v6, v14, v6
	buffer_load_dword v14, off, s[24:27], 0 offset:28 ; 4-byte Folded Reload
	v_add_u32_e32 v8, 0xfffffc10, v8
	v_lshl_or_b32 v10, v8, 12, v0
	v_cmp_gt_i32_e32 vcc, 1, v8
	v_cndmask_b32_e32 v6, v10, v6, vcc
	v_and_b32_e32 v10, 7, v6
	v_cmp_lt_i32_e32 vcc, 5, v10
	v_cmp_eq_u32_e64 s[0:1], 3, v10
	v_lshrrev_b32_e32 v10, 2, v6
	v_cvt_f64_f32_e32 v[6:7], v7
	s_or_b64 vcc, s[0:1], vcc
	v_addc_co_u32_e32 v10, vcc, 0, v10, vcc
	v_mul_f64 v[6:7], v[6:7], s[2:3]
	v_cmp_gt_i32_e32 vcc, 31, v8
	v_cndmask_b32_e32 v10, v16, v10, vcc
	v_cmp_ne_u32_e32 vcc, 0, v0
	v_cndmask_b32_e64 v0, 0, 1, vcc
	v_lshl_or_b32 v0, v0, 9, v16
	v_cmp_eq_u32_e32 vcc, s10, v8
	v_cndmask_b32_e32 v0, v10, v0, vcc
	v_lshrrev_b32_e32 v1, 16, v1
	v_and_or_b32 v8, v1, s11, v0
	v_and_or_b32 v0, v7, s6, v6
	v_cmp_ne_u32_e32 vcc, 0, v0
	v_cndmask_b32_e64 v0, 0, 1, vcc
	v_lshrrev_b32_e32 v1, 8, v7
	v_bfe_u32 v6, v7, 20, 11
	v_and_or_b32 v0, v1, s7, v0
	v_sub_u32_e32 v10, 0x3f1, v6
	v_or_b32_e32 v1, 0x1000, v0
	v_med3_i32 v10, v10, 0, 13
	v_lshrrev_b32_e32 v12, v10, v1
	v_lshlrev_b32_e32 v10, v10, v12
	v_cmp_ne_u32_e32 vcc, v10, v1
	v_cndmask_b32_e64 v1, 0, 1, vcc
	v_add_u32_e32 v6, 0xfffffc10, v6
	v_or_b32_e32 v1, v12, v1
	v_lshl_or_b32 v10, v6, 12, v0
	v_cmp_gt_i32_e32 vcc, 1, v6
	v_cndmask_b32_e32 v1, v10, v1, vcc
	v_and_b32_e32 v10, 7, v1
	v_cmp_lt_i32_e32 vcc, 5, v10
	v_cmp_eq_u32_e64 s[0:1], 3, v10
	v_lshrrev_b32_e32 v10, 16, v2
	v_lshrrev_b32_e32 v1, 2, v1
	s_or_b64 vcc, s[0:1], vcc
	v_addc_co_u32_e32 v1, vcc, 0, v1, vcc
	v_cmp_gt_i32_e32 vcc, 31, v6
	v_cndmask_b32_e32 v1, v16, v1, vcc
	v_cmp_ne_u32_e32 vcc, 0, v0
	v_cndmask_b32_e64 v0, 0, 1, vcc
	v_lshl_or_b32 v0, v0, 9, v16
	v_cmp_eq_u32_e32 vcc, s10, v6
	v_cndmask_b32_e32 v6, v1, v0, vcc
	v_lshrrev_b32_e32 v7, 16, v7
	v_and_or_b32 v6, v7, s11, v6
	v_and_b32_e32 v7, 0xffff, v8
	v_lshl_or_b32 v8, v6, 16, v7
	v_mov_b32_e32 v7, s4
	v_add_co_u32_e32 v6, vcc, s5, v17
	v_addc_co_u32_e32 v7, vcc, v18, v7, vcc
	global_store_dword v[6:7], v8, off
	s_waitcnt vmcnt(1)
	v_mul_f16_sdwa v12, v14, v10 dst_sel:DWORD dst_unused:UNUSED_PAD src0_sel:WORD_1 src1_sel:DWORD
	v_fma_f16 v12, v14, v2, v12
	v_cvt_f32_f16_e32 v12, v12
	v_mov_b32_e32 v19, v14
	v_mul_f16_sdwa v2, v19, v2 dst_sel:DWORD dst_unused:UNUSED_PAD src0_sel:WORD_1 src1_sel:DWORD
	v_fma_f16 v2, v19, v10, -v2
	v_cvt_f64_f32_e32 v[0:1], v12
	v_cvt_f32_f16_e32 v2, v2
	v_mul_f64 v[0:1], v[0:1], s[2:3]
	v_and_or_b32 v0, v1, s6, v0
	v_cmp_ne_u32_e32 vcc, 0, v0
	v_cndmask_b32_e64 v0, 0, 1, vcc
	v_lshrrev_b32_e32 v8, 8, v1
	v_bfe_u32 v12, v1, 20, 11
	v_and_or_b32 v0, v8, s7, v0
	v_sub_u32_e32 v14, 0x3f1, v12
	v_or_b32_e32 v8, 0x1000, v0
	v_med3_i32 v14, v14, 0, 13
	v_lshrrev_b32_e32 v17, v14, v8
	v_lshlrev_b32_e32 v14, v14, v17
	v_cmp_ne_u32_e32 vcc, v14, v8
	v_cndmask_b32_e64 v8, 0, 1, vcc
	v_add_u32_e32 v12, 0xfffffc10, v12
	v_or_b32_e32 v8, v17, v8
	v_lshl_or_b32 v14, v12, 12, v0
	v_cmp_gt_i32_e32 vcc, 1, v12
	v_cndmask_b32_e32 v8, v14, v8, vcc
	v_and_b32_e32 v14, 7, v8
	v_cmp_lt_i32_e32 vcc, 5, v14
	v_cmp_eq_u32_e64 s[0:1], 3, v14
	buffer_load_dword v14, off, s[24:27], 0 offset:24 ; 4-byte Folded Reload
	v_cvt_f64_f32_e32 v[17:18], v2
	v_lshrrev_b32_e32 v8, 2, v8
	s_or_b64 vcc, s[0:1], vcc
	v_addc_co_u32_e32 v2, vcc, 0, v8, vcc
	v_mul_f64 v[17:18], v[17:18], s[2:3]
	v_cmp_gt_i32_e32 vcc, 31, v12
	v_cndmask_b32_e32 v2, v16, v2, vcc
	v_cmp_ne_u32_e32 vcc, 0, v0
	v_cndmask_b32_e64 v0, 0, 1, vcc
	v_lshl_or_b32 v0, v0, 9, v16
	v_cmp_eq_u32_e32 vcc, s10, v12
	v_cndmask_b32_e32 v0, v2, v0, vcc
	v_lshrrev_b32_e32 v1, 16, v1
	v_and_or_b32 v2, v1, s11, v0
	v_and_or_b32 v0, v18, s6, v17
	v_cmp_ne_u32_e32 vcc, 0, v0
	v_cndmask_b32_e64 v0, 0, 1, vcc
	v_lshrrev_b32_e32 v1, 8, v18
	v_bfe_u32 v8, v18, 20, 11
	v_and_or_b32 v0, v1, s7, v0
	v_sub_u32_e32 v10, 0x3f1, v8
	v_or_b32_e32 v1, 0x1000, v0
	v_med3_i32 v10, v10, 0, 13
	v_lshrrev_b32_e32 v12, v10, v1
	v_lshlrev_b32_e32 v10, v10, v12
	v_cmp_ne_u32_e32 vcc, v10, v1
	v_cndmask_b32_e64 v1, 0, 1, vcc
	v_add_u32_e32 v8, 0xfffffc10, v8
	v_or_b32_e32 v1, v12, v1
	v_lshl_or_b32 v10, v8, 12, v0
	v_cmp_gt_i32_e32 vcc, 1, v8
	v_cndmask_b32_e32 v1, v10, v1, vcc
	v_and_b32_e32 v10, 7, v1
	v_cmp_lt_i32_e32 vcc, 5, v10
	v_cmp_eq_u32_e64 s[0:1], 3, v10
	v_lshrrev_b32_e32 v10, 16, v9
	v_lshrrev_b32_e32 v1, 2, v1
	s_or_b64 vcc, s[0:1], vcc
	v_addc_co_u32_e32 v1, vcc, 0, v1, vcc
	v_cmp_gt_i32_e32 vcc, 31, v8
	v_cndmask_b32_e32 v1, v16, v1, vcc
	v_cmp_ne_u32_e32 vcc, 0, v0
	v_cndmask_b32_e64 v0, 0, 1, vcc
	v_lshl_or_b32 v0, v0, 9, v16
	v_cmp_eq_u32_e32 vcc, s10, v8
	v_cndmask_b32_e32 v8, v1, v0, vcc
	v_and_b32_e32 v2, 0xffff, v2
	v_add_co_u32_e32 v6, vcc, s5, v6
	s_waitcnt vmcnt(0)
	v_mul_f16_sdwa v12, v14, v10 dst_sel:DWORD dst_unused:UNUSED_PAD src0_sel:WORD_1 src1_sel:DWORD
	v_fma_f16 v12, v14, v9, v12
	v_cvt_f32_f16_e32 v12, v12
	v_mov_b32_e32 v17, v14
	v_mul_f16_sdwa v9, v17, v9 dst_sel:DWORD dst_unused:UNUSED_PAD src0_sel:WORD_1 src1_sel:DWORD
	v_fma_f16 v9, v17, v10, -v9
	v_cvt_f64_f32_e32 v[0:1], v12
	v_lshrrev_b32_e32 v12, 16, v18
	v_and_or_b32 v8, v12, s11, v8
	v_lshl_or_b32 v2, v8, 16, v2
	v_mul_f64 v[0:1], v[0:1], s[2:3]
	v_mov_b32_e32 v8, s4
	v_addc_co_u32_e32 v7, vcc, v7, v8, vcc
	global_store_dword v[6:7], v2, off
	v_cvt_f32_f16_e32 v9, v9
	v_and_or_b32 v0, v1, s6, v0
	v_cmp_ne_u32_e32 vcc, 0, v0
	v_cndmask_b32_e64 v0, 0, 1, vcc
	v_lshrrev_b32_e32 v2, 8, v1
	v_bfe_u32 v8, v1, 20, 11
	v_and_or_b32 v0, v2, s7, v0
	v_sub_u32_e32 v12, 0x3f1, v8
	v_or_b32_e32 v2, 0x1000, v0
	v_med3_i32 v12, v12, 0, 13
	v_lshrrev_b32_e32 v14, v12, v2
	v_lshlrev_b32_e32 v12, v12, v14
	v_cmp_ne_u32_e32 vcc, v12, v2
	v_cndmask_b32_e64 v2, 0, 1, vcc
	v_or_b32_e32 v2, v14, v2
	buffer_load_dword v14, off, s[24:27], 0 offset:20 ; 4-byte Folded Reload
	v_add_u32_e32 v12, 0xfffffc10, v8
	v_lshl_or_b32 v8, v12, 12, v0
	v_cmp_gt_i32_e32 vcc, 1, v12
	v_cndmask_b32_e32 v2, v8, v2, vcc
	v_and_b32_e32 v8, 7, v2
	v_cmp_lt_i32_e32 vcc, 5, v8
	v_cmp_eq_u32_e64 s[0:1], 3, v8
	v_cvt_f64_f32_e32 v[8:9], v9
	v_lshrrev_b32_e32 v2, 2, v2
	s_or_b64 vcc, s[0:1], vcc
	v_addc_co_u32_e32 v2, vcc, 0, v2, vcc
	v_mul_f64 v[8:9], v[8:9], s[2:3]
	v_cmp_gt_i32_e32 vcc, 31, v12
	v_cndmask_b32_e32 v2, v16, v2, vcc
	v_cmp_ne_u32_e32 vcc, 0, v0
	v_cndmask_b32_e64 v0, 0, 1, vcc
	v_lshl_or_b32 v0, v0, 9, v16
	v_cmp_eq_u32_e32 vcc, s10, v12
	v_cndmask_b32_e32 v0, v2, v0, vcc
	v_lshrrev_b32_e32 v1, 16, v1
	v_and_or_b32 v2, v1, s11, v0
	v_and_or_b32 v0, v9, s6, v8
	v_cmp_ne_u32_e32 vcc, 0, v0
	v_cndmask_b32_e64 v0, 0, 1, vcc
	v_lshrrev_b32_e32 v1, 8, v9
	v_bfe_u32 v8, v9, 20, 11
	v_and_or_b32 v0, v1, s7, v0
	v_sub_u32_e32 v10, 0x3f1, v8
	v_or_b32_e32 v1, 0x1000, v0
	v_med3_i32 v10, v10, 0, 13
	v_lshrrev_b32_e32 v12, v10, v1
	v_lshlrev_b32_e32 v10, v10, v12
	v_cmp_ne_u32_e32 vcc, v10, v1
	v_cndmask_b32_e64 v1, 0, 1, vcc
	v_add_u32_e32 v8, 0xfffffc10, v8
	v_or_b32_e32 v1, v12, v1
	v_lshl_or_b32 v10, v8, 12, v0
	v_cmp_gt_i32_e32 vcc, 1, v8
	v_cndmask_b32_e32 v1, v10, v1, vcc
	v_and_b32_e32 v10, 7, v1
	v_cmp_lt_i32_e32 vcc, 5, v10
	v_cmp_eq_u32_e64 s[0:1], 3, v10
	v_lshrrev_b32_e32 v10, 16, v3
	v_lshrrev_b32_e32 v1, 2, v1
	s_or_b64 vcc, s[0:1], vcc
	v_addc_co_u32_e32 v1, vcc, 0, v1, vcc
	v_cmp_gt_i32_e32 vcc, 31, v8
	v_cndmask_b32_e32 v1, v16, v1, vcc
	v_cmp_ne_u32_e32 vcc, 0, v0
	v_cndmask_b32_e64 v0, 0, 1, vcc
	v_lshl_or_b32 v0, v0, 9, v16
	v_cmp_eq_u32_e32 vcc, s10, v8
	v_cndmask_b32_e32 v8, v1, v0, vcc
	v_lshrrev_b32_e32 v9, 16, v9
	v_and_or_b32 v8, v9, s11, v8
	v_and_b32_e32 v2, 0xffff, v2
	v_lshl_or_b32 v2, v8, 16, v2
	v_mov_b32_e32 v8, s4
	v_add_co_u32_e32 v6, vcc, s5, v6
	v_addc_co_u32_e32 v7, vcc, v7, v8, vcc
	global_store_dword v[6:7], v2, off
	s_waitcnt vmcnt(1)
	v_mul_f16_sdwa v12, v14, v10 dst_sel:DWORD dst_unused:UNUSED_PAD src0_sel:WORD_1 src1_sel:DWORD
	v_fma_f16 v12, v14, v3, v12
	v_cvt_f32_f16_e32 v12, v12
	v_mul_f16_sdwa v3, v14, v3 dst_sel:DWORD dst_unused:UNUSED_PAD src0_sel:WORD_1 src1_sel:DWORD
	v_fma_f16 v3, v14, v10, -v3
	v_cvt_f32_f16_e32 v3, v3
	v_cvt_f64_f32_e32 v[0:1], v12
	v_mul_f64 v[0:1], v[0:1], s[2:3]
	v_and_or_b32 v0, v1, s6, v0
	v_cmp_ne_u32_e32 vcc, 0, v0
	v_cndmask_b32_e64 v0, 0, 1, vcc
	v_lshrrev_b32_e32 v2, 8, v1
	v_bfe_u32 v8, v1, 20, 11
	v_and_or_b32 v0, v2, s7, v0
	v_sub_u32_e32 v9, 0x3f1, v8
	v_or_b32_e32 v2, 0x1000, v0
	v_med3_i32 v9, v9, 0, 13
	v_lshrrev_b32_e32 v12, v9, v2
	v_lshlrev_b32_e32 v9, v9, v12
	v_cmp_ne_u32_e32 vcc, v9, v2
	v_cndmask_b32_e64 v2, 0, 1, vcc
	v_or_b32_e32 v2, v12, v2
	buffer_load_dword v12, off, s[24:27], 0 offset:16 ; 4-byte Folded Reload
	v_add_u32_e32 v8, 0xfffffc10, v8
	v_lshl_or_b32 v9, v8, 12, v0
	v_cmp_gt_i32_e32 vcc, 1, v8
	v_cndmask_b32_e32 v2, v9, v2, vcc
	v_and_b32_e32 v9, 7, v2
	v_cmp_lt_i32_e32 vcc, 5, v9
	v_cmp_eq_u32_e64 s[0:1], 3, v9
	v_lshrrev_b32_e32 v9, 2, v2
	v_cvt_f64_f32_e32 v[2:3], v3
	s_or_b64 vcc, s[0:1], vcc
	v_addc_co_u32_e32 v9, vcc, 0, v9, vcc
	v_mul_f64 v[2:3], v[2:3], s[2:3]
	v_cmp_gt_i32_e32 vcc, 31, v8
	v_cndmask_b32_e32 v9, v16, v9, vcc
	v_cmp_ne_u32_e32 vcc, 0, v0
	v_cndmask_b32_e64 v0, 0, 1, vcc
	v_lshl_or_b32 v0, v0, 9, v16
	v_cmp_eq_u32_e32 vcc, s10, v8
	v_cndmask_b32_e32 v0, v9, v0, vcc
	v_lshrrev_b32_e32 v1, 16, v1
	v_and_or_b32 v8, v1, s11, v0
	v_and_or_b32 v0, v3, s6, v2
	v_cmp_ne_u32_e32 vcc, 0, v0
	v_cndmask_b32_e64 v0, 0, 1, vcc
	v_lshrrev_b32_e32 v1, 8, v3
	v_bfe_u32 v2, v3, 20, 11
	v_and_or_b32 v0, v1, s7, v0
	v_sub_u32_e32 v9, 0x3f1, v2
	v_or_b32_e32 v1, 0x1000, v0
	v_med3_i32 v9, v9, 0, 13
	v_lshrrev_b32_e32 v10, v9, v1
	v_lshlrev_b32_e32 v9, v9, v10
	v_cmp_ne_u32_e32 vcc, v9, v1
	v_cndmask_b32_e64 v1, 0, 1, vcc
	v_add_u32_e32 v2, 0xfffffc10, v2
	v_or_b32_e32 v1, v10, v1
	v_lshl_or_b32 v9, v2, 12, v0
	v_cmp_gt_i32_e32 vcc, 1, v2
	v_cndmask_b32_e32 v1, v9, v1, vcc
	v_and_b32_e32 v9, 7, v1
	v_cmp_lt_i32_e32 vcc, 5, v9
	v_cmp_eq_u32_e64 s[0:1], 3, v9
	v_lshrrev_b32_e32 v9, 16, v11
	v_lshrrev_b32_e32 v1, 2, v1
	s_or_b64 vcc, s[0:1], vcc
	v_addc_co_u32_e32 v1, vcc, 0, v1, vcc
	v_cmp_gt_i32_e32 vcc, 31, v2
	v_cndmask_b32_e32 v1, v16, v1, vcc
	v_cmp_ne_u32_e32 vcc, 0, v0
	v_cndmask_b32_e64 v0, 0, 1, vcc
	v_lshl_or_b32 v0, v0, 9, v16
	v_cmp_eq_u32_e32 vcc, s10, v2
	v_cndmask_b32_e32 v2, v1, v0, vcc
	v_lshrrev_b32_e32 v3, 16, v3
	v_and_or_b32 v2, v3, s11, v2
	v_and_b32_e32 v3, 0xffff, v8
	v_lshl_or_b32 v8, v2, 16, v3
	v_mov_b32_e32 v3, s4
	v_add_co_u32_e32 v2, vcc, s5, v6
	v_addc_co_u32_e32 v3, vcc, v7, v3, vcc
	global_store_dword v[2:3], v8, off
	s_waitcnt vmcnt(1)
	v_mul_f16_sdwa v10, v12, v9 dst_sel:DWORD dst_unused:UNUSED_PAD src0_sel:WORD_1 src1_sel:DWORD
	v_fma_f16 v10, v12, v11, v10
	v_cvt_f32_f16_e32 v10, v10
	v_cvt_f64_f32_e32 v[0:1], v10
	v_mul_f64 v[0:1], v[0:1], s[2:3]
	v_and_or_b32 v0, v1, s6, v0
	v_cmp_ne_u32_e32 vcc, 0, v0
	v_cndmask_b32_e64 v0, 0, 1, vcc
	v_lshrrev_b32_e32 v6, 8, v1
	v_bfe_u32 v7, v1, 20, 11
	v_and_or_b32 v0, v6, s7, v0
	v_sub_u32_e32 v8, 0x3f1, v7
	v_or_b32_e32 v6, 0x1000, v0
	v_med3_i32 v8, v8, 0, 13
	v_lshrrev_b32_e32 v10, v8, v6
	v_lshlrev_b32_e32 v8, v8, v10
	v_cmp_ne_u32_e32 vcc, v8, v6
	v_cndmask_b32_e64 v6, 0, 1, vcc
	v_or_b32_e32 v6, v10, v6
	v_mul_f16_sdwa v10, v12, v11 dst_sel:DWORD dst_unused:UNUSED_PAD src0_sel:WORD_1 src1_sel:DWORD
	buffer_load_dword v11, off, s[24:27], 0 offset:12 ; 4-byte Folded Reload
	v_fma_f16 v9, v12, v9, -v10
	v_add_u32_e32 v8, 0xfffffc10, v7
	v_cvt_f32_f16_e32 v9, v9
	v_lshl_or_b32 v7, v8, 12, v0
	v_cmp_gt_i32_e32 vcc, 1, v8
	v_cndmask_b32_e32 v6, v7, v6, vcc
	v_and_b32_e32 v7, 7, v6
	v_cmp_lt_i32_e32 vcc, 5, v7
	v_cmp_eq_u32_e64 s[0:1], 3, v7
	v_lshrrev_b32_e32 v10, 2, v6
	v_cvt_f64_f32_e32 v[6:7], v9
	s_or_b64 vcc, s[0:1], vcc
	v_addc_co_u32_e32 v9, vcc, 0, v10, vcc
	v_mul_f64 v[6:7], v[6:7], s[2:3]
	v_cmp_gt_i32_e32 vcc, 31, v8
	v_cndmask_b32_e32 v9, v16, v9, vcc
	v_cmp_ne_u32_e32 vcc, 0, v0
	v_cndmask_b32_e64 v0, 0, 1, vcc
	v_lshl_or_b32 v0, v0, 9, v16
	v_cmp_eq_u32_e32 vcc, s10, v8
	v_cndmask_b32_e32 v0, v9, v0, vcc
	v_lshrrev_b32_e32 v1, 16, v1
	v_and_or_b32 v8, v1, s11, v0
	v_and_or_b32 v0, v7, s6, v6
	v_cmp_ne_u32_e32 vcc, 0, v0
	v_cndmask_b32_e64 v0, 0, 1, vcc
	v_lshrrev_b32_e32 v1, 8, v7
	v_bfe_u32 v6, v7, 20, 11
	v_and_or_b32 v0, v1, s7, v0
	v_sub_u32_e32 v9, 0x3f1, v6
	v_or_b32_e32 v1, 0x1000, v0
	v_med3_i32 v9, v9, 0, 13
	v_lshrrev_b32_e32 v10, v9, v1
	v_lshlrev_b32_e32 v9, v9, v10
	v_cmp_ne_u32_e32 vcc, v9, v1
	v_cndmask_b32_e64 v1, 0, 1, vcc
	v_add_u32_e32 v6, 0xfffffc10, v6
	v_or_b32_e32 v1, v10, v1
	v_lshl_or_b32 v9, v6, 12, v0
	v_cmp_gt_i32_e32 vcc, 1, v6
	v_cndmask_b32_e32 v1, v9, v1, vcc
	v_and_b32_e32 v9, 7, v1
	v_cmp_lt_i32_e32 vcc, 5, v9
	v_cmp_eq_u32_e64 s[0:1], 3, v9
	v_lshrrev_b32_e32 v9, 16, v4
	v_lshrrev_b32_e32 v1, 2, v1
	s_or_b64 vcc, s[0:1], vcc
	v_addc_co_u32_e32 v1, vcc, 0, v1, vcc
	v_cmp_gt_i32_e32 vcc, 31, v6
	v_cndmask_b32_e32 v1, v16, v1, vcc
	v_cmp_ne_u32_e32 vcc, 0, v0
	v_cndmask_b32_e64 v0, 0, 1, vcc
	v_lshl_or_b32 v0, v0, 9, v16
	v_cmp_eq_u32_e32 vcc, s10, v6
	v_cndmask_b32_e32 v6, v1, v0, vcc
	v_lshrrev_b32_e32 v7, 16, v7
	v_and_or_b32 v6, v7, s11, v6
	v_and_b32_e32 v7, 0xffff, v8
	v_lshl_or_b32 v6, v6, 16, v7
	v_mov_b32_e32 v7, s4
	v_add_co_u32_e32 v2, vcc, s5, v2
	v_addc_co_u32_e32 v3, vcc, v3, v7, vcc
	global_store_dword v[2:3], v6, off
	s_waitcnt vmcnt(1)
	v_mul_f16_sdwa v10, v11, v9 dst_sel:DWORD dst_unused:UNUSED_PAD src0_sel:WORD_1 src1_sel:DWORD
	v_fma_f16 v10, v11, v4, v10
	v_cvt_f32_f16_e32 v10, v10
	v_mul_f16_sdwa v4, v11, v4 dst_sel:DWORD dst_unused:UNUSED_PAD src0_sel:WORD_1 src1_sel:DWORD
	v_fma_f16 v4, v11, v9, -v4
	v_cvt_f32_f16_e32 v4, v4
	v_cvt_f64_f32_e32 v[0:1], v10
	v_mul_f64 v[0:1], v[0:1], s[2:3]
	v_and_or_b32 v0, v1, s6, v0
	v_cmp_ne_u32_e32 vcc, 0, v0
	v_cndmask_b32_e64 v0, 0, 1, vcc
	v_lshrrev_b32_e32 v6, 8, v1
	v_bfe_u32 v7, v1, 20, 11
	v_and_or_b32 v0, v6, s7, v0
	v_sub_u32_e32 v8, 0x3f1, v7
	v_or_b32_e32 v6, 0x1000, v0
	v_med3_i32 v8, v8, 0, 13
	v_lshrrev_b32_e32 v10, v8, v6
	v_lshlrev_b32_e32 v8, v8, v10
	v_cmp_ne_u32_e32 vcc, v8, v6
	v_cndmask_b32_e64 v6, 0, 1, vcc
	v_or_b32_e32 v6, v10, v6
	buffer_load_dword v10, off, s[24:27], 0 offset:8 ; 4-byte Folded Reload
	v_add_u32_e32 v8, 0xfffffc10, v7
	v_lshl_or_b32 v7, v8, 12, v0
	v_cmp_gt_i32_e32 vcc, 1, v8
	v_cndmask_b32_e32 v6, v7, v6, vcc
	v_and_b32_e32 v7, 7, v6
	v_cmp_lt_i32_e32 vcc, 5, v7
	v_cmp_eq_u32_e64 s[0:1], 3, v7
	v_lshrrev_b32_e32 v9, 2, v6
	v_cvt_f64_f32_e32 v[6:7], v4
	s_or_b64 vcc, s[0:1], vcc
	v_addc_co_u32_e32 v4, vcc, 0, v9, vcc
	v_mul_f64 v[6:7], v[6:7], s[2:3]
	v_cmp_gt_i32_e32 vcc, 31, v8
	v_cndmask_b32_e32 v4, v16, v4, vcc
	v_cmp_ne_u32_e32 vcc, 0, v0
	v_cndmask_b32_e64 v0, 0, 1, vcc
	v_lshl_or_b32 v0, v0, 9, v16
	v_cmp_eq_u32_e32 vcc, s10, v8
	v_cndmask_b32_e32 v0, v4, v0, vcc
	v_lshrrev_b32_e32 v1, 16, v1
	v_and_or_b32 v4, v1, s11, v0
	v_and_or_b32 v0, v7, s6, v6
	v_cmp_ne_u32_e32 vcc, 0, v0
	v_cndmask_b32_e64 v0, 0, 1, vcc
	v_lshrrev_b32_e32 v1, 8, v7
	v_bfe_u32 v6, v7, 20, 11
	v_and_or_b32 v0, v1, s7, v0
	v_sub_u32_e32 v8, 0x3f1, v6
	v_or_b32_e32 v1, 0x1000, v0
	v_med3_i32 v8, v8, 0, 13
	v_lshrrev_b32_e32 v9, v8, v1
	v_lshlrev_b32_e32 v8, v8, v9
	v_cmp_ne_u32_e32 vcc, v8, v1
	v_cndmask_b32_e64 v1, 0, 1, vcc
	v_add_u32_e32 v6, 0xfffffc10, v6
	v_or_b32_e32 v1, v9, v1
	v_lshl_or_b32 v8, v6, 12, v0
	v_cmp_gt_i32_e32 vcc, 1, v6
	v_cndmask_b32_e32 v1, v8, v1, vcc
	v_and_b32_e32 v8, 7, v1
	v_cmp_lt_i32_e32 vcc, 5, v8
	v_cmp_eq_u32_e64 s[0:1], 3, v8
	v_lshrrev_b32_e32 v8, 16, v13
	v_lshrrev_b32_e32 v1, 2, v1
	s_or_b64 vcc, s[0:1], vcc
	v_addc_co_u32_e32 v1, vcc, 0, v1, vcc
	v_cmp_gt_i32_e32 vcc, 31, v6
	v_cndmask_b32_e32 v1, v16, v1, vcc
	v_cmp_ne_u32_e32 vcc, 0, v0
	v_cndmask_b32_e64 v0, 0, 1, vcc
	v_lshl_or_b32 v0, v0, 9, v16
	v_cmp_eq_u32_e32 vcc, s10, v6
	v_cndmask_b32_e32 v6, v1, v0, vcc
	v_lshrrev_b32_e32 v7, 16, v7
	v_and_or_b32 v6, v7, s11, v6
	v_and_b32_e32 v4, 0xffff, v4
	v_lshl_or_b32 v4, v6, 16, v4
	v_mov_b32_e32 v6, s4
	v_add_co_u32_e32 v2, vcc, s5, v2
	v_addc_co_u32_e32 v3, vcc, v3, v6, vcc
	global_store_dword v[2:3], v4, off
	s_waitcnt vmcnt(1)
	v_mul_f16_sdwa v9, v10, v8 dst_sel:DWORD dst_unused:UNUSED_PAD src0_sel:WORD_1 src1_sel:DWORD
	v_fma_f16 v9, v10, v13, v9
	v_cvt_f32_f16_e32 v9, v9
	v_cvt_f64_f32_e32 v[0:1], v9
	v_mul_f64 v[0:1], v[0:1], s[2:3]
	v_and_or_b32 v0, v1, s6, v0
	v_cmp_ne_u32_e32 vcc, 0, v0
	v_cndmask_b32_e64 v0, 0, 1, vcc
	v_lshrrev_b32_e32 v4, 8, v1
	v_bfe_u32 v6, v1, 20, 11
	v_and_or_b32 v0, v4, s7, v0
	v_sub_u32_e32 v7, 0x3f1, v6
	v_or_b32_e32 v4, 0x1000, v0
	v_med3_i32 v7, v7, 0, 13
	v_lshrrev_b32_e32 v9, v7, v4
	v_lshlrev_b32_e32 v7, v7, v9
	v_cmp_ne_u32_e32 vcc, v7, v4
	v_mul_f16_sdwa v7, v10, v13 dst_sel:DWORD dst_unused:UNUSED_PAD src0_sel:WORD_1 src1_sel:DWORD
	v_fma_f16 v7, v10, v8, -v7
	buffer_load_dword v10, off, s[24:27], 0 offset:4 ; 4-byte Folded Reload
	v_cndmask_b32_e64 v4, 0, 1, vcc
	v_or_b32_e32 v4, v9, v4
	v_add_u32_e32 v9, 0xfffffc10, v6
	v_cvt_f32_f16_e32 v7, v7
	v_lshl_or_b32 v6, v9, 12, v0
	v_cmp_gt_i32_e32 vcc, 1, v9
	v_cndmask_b32_e32 v4, v6, v4, vcc
	v_and_b32_e32 v6, 7, v4
	v_cmp_lt_i32_e32 vcc, 5, v6
	v_cmp_eq_u32_e64 s[0:1], 3, v6
	v_cvt_f64_f32_e32 v[6:7], v7
	v_lshrrev_b32_e32 v4, 2, v4
	s_or_b64 vcc, s[0:1], vcc
	v_addc_co_u32_e32 v4, vcc, 0, v4, vcc
	v_mul_f64 v[6:7], v[6:7], s[2:3]
	v_cmp_gt_i32_e32 vcc, 31, v9
	v_cndmask_b32_e32 v4, v16, v4, vcc
	v_cmp_ne_u32_e32 vcc, 0, v0
	v_cndmask_b32_e64 v0, 0, 1, vcc
	v_lshl_or_b32 v0, v0, 9, v16
	v_cmp_eq_u32_e32 vcc, s10, v9
	v_cndmask_b32_e32 v0, v4, v0, vcc
	v_lshrrev_b32_e32 v1, 16, v1
	v_and_or_b32 v4, v1, s11, v0
	v_and_or_b32 v0, v7, s6, v6
	v_cmp_ne_u32_e32 vcc, 0, v0
	v_cndmask_b32_e64 v0, 0, 1, vcc
	v_lshrrev_b32_e32 v1, 8, v7
	v_bfe_u32 v6, v7, 20, 11
	v_and_or_b32 v0, v1, s7, v0
	v_sub_u32_e32 v8, 0x3f1, v6
	v_or_b32_e32 v1, 0x1000, v0
	v_med3_i32 v8, v8, 0, 13
	v_lshrrev_b32_e32 v9, v8, v1
	v_lshlrev_b32_e32 v8, v8, v9
	v_cmp_ne_u32_e32 vcc, v8, v1
	v_cndmask_b32_e64 v1, 0, 1, vcc
	v_add_u32_e32 v6, 0xfffffc10, v6
	v_or_b32_e32 v1, v9, v1
	v_lshl_or_b32 v8, v6, 12, v0
	v_cmp_gt_i32_e32 vcc, 1, v6
	v_cndmask_b32_e32 v1, v8, v1, vcc
	v_and_b32_e32 v8, 7, v1
	v_cmp_lt_i32_e32 vcc, 5, v8
	v_cmp_eq_u32_e64 s[0:1], 3, v8
	v_lshrrev_b32_e32 v8, 16, v5
	v_lshrrev_b32_e32 v1, 2, v1
	s_or_b64 vcc, s[0:1], vcc
	v_addc_co_u32_e32 v1, vcc, 0, v1, vcc
	v_cmp_gt_i32_e32 vcc, 31, v6
	v_cndmask_b32_e32 v1, v16, v1, vcc
	v_cmp_ne_u32_e32 vcc, 0, v0
	v_cndmask_b32_e64 v0, 0, 1, vcc
	v_lshl_or_b32 v0, v0, 9, v16
	v_cmp_eq_u32_e32 vcc, s10, v6
	v_cndmask_b32_e32 v6, v1, v0, vcc
	v_lshrrev_b32_e32 v7, 16, v7
	v_and_or_b32 v6, v7, s11, v6
	v_and_b32_e32 v4, 0xffff, v4
	v_lshl_or_b32 v4, v6, 16, v4
	v_mov_b32_e32 v6, s4
	v_add_co_u32_e32 v2, vcc, s5, v2
	v_addc_co_u32_e32 v3, vcc, v3, v6, vcc
	global_store_dword v[2:3], v4, off
	s_waitcnt vmcnt(1)
	v_mul_f16_sdwa v9, v10, v8 dst_sel:DWORD dst_unused:UNUSED_PAD src0_sel:WORD_1 src1_sel:DWORD
	v_fma_f16 v9, v10, v5, v9
	v_cvt_f32_f16_e32 v9, v9
	v_mul_f16_sdwa v5, v10, v5 dst_sel:DWORD dst_unused:UNUSED_PAD src0_sel:WORD_1 src1_sel:DWORD
	v_fma_f16 v5, v10, v8, -v5
	v_cvt_f32_f16_e32 v5, v5
	v_cvt_f64_f32_e32 v[0:1], v9
	v_mul_f64 v[0:1], v[0:1], s[2:3]
	v_and_or_b32 v0, v1, s6, v0
	v_cmp_ne_u32_e32 vcc, 0, v0
	v_cndmask_b32_e64 v0, 0, 1, vcc
	v_lshrrev_b32_e32 v4, 8, v1
	v_bfe_u32 v6, v1, 20, 11
	v_and_or_b32 v0, v4, s7, v0
	v_sub_u32_e32 v7, 0x3f1, v6
	v_or_b32_e32 v4, 0x1000, v0
	v_med3_i32 v7, v7, 0, 13
	v_lshrrev_b32_e32 v9, v7, v4
	v_lshlrev_b32_e32 v7, v7, v9
	v_cmp_ne_u32_e32 vcc, v7, v4
	v_cndmask_b32_e64 v4, 0, 1, vcc
	v_or_b32_e32 v4, v9, v4
	buffer_load_dword v9, off, s[24:27], 0  ; 4-byte Folded Reload
	v_add_u32_e32 v6, 0xfffffc10, v6
	v_lshl_or_b32 v7, v6, 12, v0
	v_cmp_gt_i32_e32 vcc, 1, v6
	v_cndmask_b32_e32 v4, v7, v4, vcc
	v_and_b32_e32 v7, 7, v4
	v_cmp_lt_i32_e32 vcc, 5, v7
	v_cmp_eq_u32_e64 s[0:1], 3, v7
	v_lshrrev_b32_e32 v7, 2, v4
	v_cvt_f64_f32_e32 v[4:5], v5
	s_or_b64 vcc, s[0:1], vcc
	v_addc_co_u32_e32 v7, vcc, 0, v7, vcc
	v_mul_f64 v[4:5], v[4:5], s[2:3]
	v_cmp_gt_i32_e32 vcc, 31, v6
	v_cndmask_b32_e32 v7, v16, v7, vcc
	v_cmp_ne_u32_e32 vcc, 0, v0
	v_cndmask_b32_e64 v0, 0, 1, vcc
	v_lshl_or_b32 v0, v0, 9, v16
	v_cmp_eq_u32_e32 vcc, s10, v6
	v_cndmask_b32_e32 v0, v7, v0, vcc
	v_lshrrev_b32_e32 v1, 16, v1
	v_and_or_b32 v6, v1, s11, v0
	v_and_or_b32 v0, v5, s6, v4
	v_cmp_ne_u32_e32 vcc, 0, v0
	v_cndmask_b32_e64 v0, 0, 1, vcc
	v_lshrrev_b32_e32 v1, 8, v5
	v_bfe_u32 v4, v5, 20, 11
	v_and_or_b32 v0, v1, s7, v0
	v_sub_u32_e32 v7, 0x3f1, v4
	v_or_b32_e32 v1, 0x1000, v0
	v_med3_i32 v7, v7, 0, 13
	v_lshrrev_b32_e32 v8, v7, v1
	v_lshlrev_b32_e32 v7, v7, v8
	v_cmp_ne_u32_e32 vcc, v7, v1
	v_cndmask_b32_e64 v1, 0, 1, vcc
	v_add_u32_e32 v4, 0xfffffc10, v4
	v_or_b32_e32 v1, v8, v1
	v_lshl_or_b32 v7, v4, 12, v0
	v_cmp_gt_i32_e32 vcc, 1, v4
	v_cndmask_b32_e32 v1, v7, v1, vcc
	v_and_b32_e32 v7, 7, v1
	v_cmp_lt_i32_e32 vcc, 5, v7
	v_cmp_eq_u32_e64 s[0:1], 3, v7
	v_lshrrev_b32_e32 v7, 16, v15
	v_lshrrev_b32_e32 v1, 2, v1
	s_or_b64 vcc, s[0:1], vcc
	v_addc_co_u32_e32 v1, vcc, 0, v1, vcc
	v_cmp_gt_i32_e32 vcc, 31, v4
	v_cndmask_b32_e32 v1, v16, v1, vcc
	v_cmp_ne_u32_e32 vcc, 0, v0
	v_cndmask_b32_e64 v0, 0, 1, vcc
	v_lshl_or_b32 v0, v0, 9, v16
	v_cmp_eq_u32_e32 vcc, s10, v4
	v_cndmask_b32_e32 v4, v1, v0, vcc
	v_lshrrev_b32_e32 v5, 16, v5
	v_and_or_b32 v4, v5, s11, v4
	v_and_b32_e32 v5, 0xffff, v6
	v_lshl_or_b32 v4, v4, 16, v5
	v_mov_b32_e32 v5, s4
	v_add_co_u32_e32 v2, vcc, s5, v2
	v_addc_co_u32_e32 v3, vcc, v3, v5, vcc
	global_store_dword v[2:3], v4, off
	s_waitcnt vmcnt(1)
	v_mul_f16_sdwa v8, v9, v7 dst_sel:DWORD dst_unused:UNUSED_PAD src0_sel:WORD_1 src1_sel:DWORD
	v_fma_f16 v8, v9, v15, v8
	v_cvt_f32_f16_e32 v8, v8
	v_cvt_f64_f32_e32 v[0:1], v8
	v_mul_f64 v[0:1], v[0:1], s[2:3]
	v_and_or_b32 v0, v1, s6, v0
	v_cmp_ne_u32_e32 vcc, 0, v0
	v_cndmask_b32_e64 v0, 0, 1, vcc
	v_lshrrev_b32_e32 v4, 8, v1
	v_bfe_u32 v5, v1, 20, 11
	v_and_or_b32 v0, v4, s7, v0
	v_sub_u32_e32 v6, 0x3f1, v5
	v_or_b32_e32 v4, 0x1000, v0
	v_med3_i32 v6, v6, 0, 13
	v_lshrrev_b32_e32 v8, v6, v4
	v_lshlrev_b32_e32 v6, v6, v8
	v_cmp_ne_u32_e32 vcc, v6, v4
	v_cndmask_b32_e64 v4, 0, 1, vcc
	v_or_b32_e32 v4, v8, v4
	v_mul_f16_sdwa v8, v9, v15 dst_sel:DWORD dst_unused:UNUSED_PAD src0_sel:WORD_1 src1_sel:DWORD
	v_fma_f16 v7, v9, v7, -v8
	v_add_u32_e32 v6, 0xfffffc10, v5
	v_cvt_f32_f16_e32 v7, v7
	v_lshl_or_b32 v5, v6, 12, v0
	v_cmp_gt_i32_e32 vcc, 1, v6
	v_cndmask_b32_e32 v4, v5, v4, vcc
	v_and_b32_e32 v5, 7, v4
	v_cmp_lt_i32_e32 vcc, 5, v5
	v_cmp_eq_u32_e64 s[0:1], 3, v5
	v_lshrrev_b32_e32 v8, 2, v4
	v_cvt_f64_f32_e32 v[4:5], v7
	s_or_b64 vcc, s[0:1], vcc
	v_addc_co_u32_e32 v7, vcc, 0, v8, vcc
	v_mul_f64 v[4:5], v[4:5], s[2:3]
	v_cmp_gt_i32_e32 vcc, 31, v6
	v_cndmask_b32_e32 v7, v16, v7, vcc
	v_cmp_ne_u32_e32 vcc, 0, v0
	v_cndmask_b32_e64 v0, 0, 1, vcc
	v_lshl_or_b32 v0, v0, 9, v16
	v_cmp_eq_u32_e32 vcc, s10, v6
	v_cndmask_b32_e32 v0, v7, v0, vcc
	v_lshrrev_b32_e32 v1, 16, v1
	v_and_or_b32 v0, v1, s11, v0
	v_and_or_b32 v1, v5, s6, v4
	v_cmp_ne_u32_e32 vcc, 0, v1
	v_cndmask_b32_e64 v1, 0, 1, vcc
	v_lshrrev_b32_e32 v4, 8, v5
	v_bfe_u32 v6, v5, 20, 11
	v_and_or_b32 v1, v4, s7, v1
	v_sub_u32_e32 v7, 0x3f1, v6
	v_or_b32_e32 v4, 0x1000, v1
	v_med3_i32 v7, v7, 0, 13
	v_lshrrev_b32_e32 v8, v7, v4
	v_lshlrev_b32_e32 v7, v7, v8
	v_cmp_ne_u32_e32 vcc, v7, v4
	v_cndmask_b32_e64 v4, 0, 1, vcc
	v_add_u32_e32 v6, 0xfffffc10, v6
	v_or_b32_e32 v4, v8, v4
	v_lshl_or_b32 v7, v6, 12, v1
	v_cmp_gt_i32_e32 vcc, 1, v6
	v_cndmask_b32_e32 v4, v7, v4, vcc
	v_and_b32_e32 v7, 7, v4
	v_cmp_lt_i32_e32 vcc, 5, v7
	v_cmp_eq_u32_e64 s[0:1], 3, v7
	v_lshrrev_b32_e32 v4, 2, v4
	s_or_b64 vcc, s[0:1], vcc
	v_addc_co_u32_e32 v4, vcc, 0, v4, vcc
	v_cmp_gt_i32_e32 vcc, 31, v6
	v_cndmask_b32_e32 v4, v16, v4, vcc
	v_cmp_ne_u32_e32 vcc, 0, v1
	v_cndmask_b32_e64 v1, 0, 1, vcc
	v_lshl_or_b32 v1, v1, 9, v16
	v_cmp_eq_u32_e32 vcc, s10, v6
	v_cndmask_b32_e32 v1, v4, v1, vcc
	v_lshrrev_b32_e32 v4, 16, v5
	v_and_or_b32 v1, v4, s11, v1
	v_and_b32_e32 v0, 0xffff, v0
	v_lshl_or_b32 v4, v1, 16, v0
	v_mov_b32_e32 v1, s4
	v_add_co_u32_e32 v0, vcc, s5, v2
	v_addc_co_u32_e32 v1, vcc, v3, v1, vcc
	global_store_dword v[0:1], v4, off
.LBB0_2:
	s_endpgm
	.section	.rodata,"a",@progbits
	.p2align	6, 0x0
	.amdhsa_kernel bluestein_single_fwd_len3840_dim1_half_op_CI_CI
		.amdhsa_group_segment_fixed_size 15360
		.amdhsa_private_segment_fixed_size 72
		.amdhsa_kernarg_size 104
		.amdhsa_user_sgpr_count 6
		.amdhsa_user_sgpr_private_segment_buffer 1
		.amdhsa_user_sgpr_dispatch_ptr 0
		.amdhsa_user_sgpr_queue_ptr 0
		.amdhsa_user_sgpr_kernarg_segment_ptr 1
		.amdhsa_user_sgpr_dispatch_id 0
		.amdhsa_user_sgpr_flat_scratch_init 0
		.amdhsa_user_sgpr_private_segment_size 0
		.amdhsa_uses_dynamic_stack 0
		.amdhsa_system_sgpr_private_segment_wavefront_offset 1
		.amdhsa_system_sgpr_workgroup_id_x 1
		.amdhsa_system_sgpr_workgroup_id_y 0
		.amdhsa_system_sgpr_workgroup_id_z 0
		.amdhsa_system_sgpr_workgroup_info 0
		.amdhsa_system_vgpr_workitem_id 0
		.amdhsa_next_free_vgpr 256
		.amdhsa_next_free_sgpr 28
		.amdhsa_reserve_vcc 1
		.amdhsa_reserve_flat_scratch 0
		.amdhsa_float_round_mode_32 0
		.amdhsa_float_round_mode_16_64 0
		.amdhsa_float_denorm_mode_32 3
		.amdhsa_float_denorm_mode_16_64 3
		.amdhsa_dx10_clamp 1
		.amdhsa_ieee_mode 1
		.amdhsa_fp16_overflow 0
		.amdhsa_exception_fp_ieee_invalid_op 0
		.amdhsa_exception_fp_denorm_src 0
		.amdhsa_exception_fp_ieee_div_zero 0
		.amdhsa_exception_fp_ieee_overflow 0
		.amdhsa_exception_fp_ieee_underflow 0
		.amdhsa_exception_fp_ieee_inexact 0
		.amdhsa_exception_int_div_zero 0
	.end_amdhsa_kernel
	.text
.Lfunc_end0:
	.size	bluestein_single_fwd_len3840_dim1_half_op_CI_CI, .Lfunc_end0-bluestein_single_fwd_len3840_dim1_half_op_CI_CI
                                        ; -- End function
	.section	.AMDGPU.csdata,"",@progbits
; Kernel info:
; codeLenInByte = 53380
; NumSgprs: 32
; NumVgprs: 256
; ScratchSize: 72
; MemoryBound: 0
; FloatMode: 240
; IeeeMode: 1
; LDSByteSize: 15360 bytes/workgroup (compile time only)
; SGPRBlocks: 3
; VGPRBlocks: 63
; NumSGPRsForWavesPerEU: 32
; NumVGPRsForWavesPerEU: 256
; Occupancy: 1
; WaveLimiterHint : 1
; COMPUTE_PGM_RSRC2:SCRATCH_EN: 1
; COMPUTE_PGM_RSRC2:USER_SGPR: 6
; COMPUTE_PGM_RSRC2:TRAP_HANDLER: 0
; COMPUTE_PGM_RSRC2:TGID_X_EN: 1
; COMPUTE_PGM_RSRC2:TGID_Y_EN: 0
; COMPUTE_PGM_RSRC2:TGID_Z_EN: 0
; COMPUTE_PGM_RSRC2:TIDIG_COMP_CNT: 0
	.type	__hip_cuid_3499a4b2bbf23682,@object ; @__hip_cuid_3499a4b2bbf23682
	.section	.bss,"aw",@nobits
	.globl	__hip_cuid_3499a4b2bbf23682
__hip_cuid_3499a4b2bbf23682:
	.byte	0                               ; 0x0
	.size	__hip_cuid_3499a4b2bbf23682, 1

	.ident	"AMD clang version 19.0.0git (https://github.com/RadeonOpenCompute/llvm-project roc-6.4.0 25133 c7fe45cf4b819c5991fe208aaa96edf142730f1d)"
	.section	".note.GNU-stack","",@progbits
	.addrsig
	.addrsig_sym __hip_cuid_3499a4b2bbf23682
	.amdgpu_metadata
---
amdhsa.kernels:
  - .args:
      - .actual_access:  read_only
        .address_space:  global
        .offset:         0
        .size:           8
        .value_kind:     global_buffer
      - .actual_access:  read_only
        .address_space:  global
        .offset:         8
        .size:           8
        .value_kind:     global_buffer
      - .actual_access:  read_only
        .address_space:  global
        .offset:         16
        .size:           8
        .value_kind:     global_buffer
      - .actual_access:  read_only
        .address_space:  global
        .offset:         24
        .size:           8
        .value_kind:     global_buffer
      - .actual_access:  read_only
        .address_space:  global
        .offset:         32
        .size:           8
        .value_kind:     global_buffer
      - .offset:         40
        .size:           8
        .value_kind:     by_value
      - .address_space:  global
        .offset:         48
        .size:           8
        .value_kind:     global_buffer
      - .address_space:  global
        .offset:         56
        .size:           8
        .value_kind:     global_buffer
      - .address_space:  global
        .offset:         64
        .size:           8
        .value_kind:     global_buffer
      - .address_space:  global
        .offset:         72
        .size:           8
        .value_kind:     global_buffer
      - .offset:         80
        .size:           4
        .value_kind:     by_value
      - .address_space:  global
        .offset:         88
        .size:           8
        .value_kind:     global_buffer
      - .address_space:  global
        .offset:         96
        .size:           8
        .value_kind:     global_buffer
    .group_segment_fixed_size: 15360
    .kernarg_segment_align: 8
    .kernarg_segment_size: 104
    .language:       OpenCL C
    .language_version:
      - 2
      - 0
    .max_flat_workgroup_size: 128
    .name:           bluestein_single_fwd_len3840_dim1_half_op_CI_CI
    .private_segment_fixed_size: 72
    .sgpr_count:     32
    .sgpr_spill_count: 0
    .symbol:         bluestein_single_fwd_len3840_dim1_half_op_CI_CI.kd
    .uniform_work_group_size: 1
    .uses_dynamic_stack: false
    .vgpr_count:     256
    .vgpr_spill_count: 17
    .wavefront_size: 64
amdhsa.target:   amdgcn-amd-amdhsa--gfx906
amdhsa.version:
  - 1
  - 2
...

	.end_amdgpu_metadata
